;; amdgpu-corpus repo=ROCm/rocFFT kind=compiled arch=gfx1201 opt=O3
	.text
	.amdgcn_target "amdgcn-amd-amdhsa--gfx1201"
	.amdhsa_code_object_version 6
	.protected	fft_rtc_back_len3600_factors_10_10_6_6_wgs_120_tpt_120_halfLds_dp_ip_CI_sbrr_dirReg ; -- Begin function fft_rtc_back_len3600_factors_10_10_6_6_wgs_120_tpt_120_halfLds_dp_ip_CI_sbrr_dirReg
	.globl	fft_rtc_back_len3600_factors_10_10_6_6_wgs_120_tpt_120_halfLds_dp_ip_CI_sbrr_dirReg
	.p2align	8
	.type	fft_rtc_back_len3600_factors_10_10_6_6_wgs_120_tpt_120_halfLds_dp_ip_CI_sbrr_dirReg,@function
fft_rtc_back_len3600_factors_10_10_6_6_wgs_120_tpt_120_halfLds_dp_ip_CI_sbrr_dirReg: ; @fft_rtc_back_len3600_factors_10_10_6_6_wgs_120_tpt_120_halfLds_dp_ip_CI_sbrr_dirReg
; %bb.0:
	s_clause 0x2
	s_load_b64 s[12:13], s[0:1], 0x18
	s_load_b128 s[4:7], s[0:1], 0x0
	s_load_b64 s[10:11], s[0:1], 0x50
	v_mul_u32_u24_e32 v1, 0x223, v0
	v_mov_b32_e32 v3, 0
	s_delay_alu instid0(VALU_DEP_2) | instskip(NEXT) | instid1(VALU_DEP_1)
	v_lshrrev_b32_e32 v1, 16, v1
	v_add_nc_u32_e32 v5, ttmp9, v1
	v_mov_b32_e32 v1, 0
	v_mov_b32_e32 v2, 0
	;; [unrolled: 1-line block ×3, first 2 shown]
	s_wait_kmcnt 0x0
	s_load_b64 s[8:9], s[12:13], 0x0
	v_cmp_lt_u64_e64 s2, s[6:7], 2
	s_delay_alu instid0(VALU_DEP_1)
	s_and_b32 vcc_lo, exec_lo, s2
	s_cbranch_vccnz .LBB0_8
; %bb.1:
	s_load_b64 s[2:3], s[0:1], 0x10
	v_mov_b32_e32 v1, 0
	v_mov_b32_e32 v2, 0
	s_add_nc_u64 s[14:15], s[12:13], 8
	s_mov_b64 s[16:17], 1
	s_wait_kmcnt 0x0
	s_add_nc_u64 s[18:19], s[2:3], 8
	s_mov_b32 s3, 0
.LBB0_2:                                ; =>This Inner Loop Header: Depth=1
	s_load_b64 s[20:21], s[18:19], 0x0
                                        ; implicit-def: $vgpr7_vgpr8
	s_mov_b32 s2, exec_lo
	s_wait_kmcnt 0x0
	v_or_b32_e32 v4, s21, v6
	s_delay_alu instid0(VALU_DEP_1)
	v_cmpx_ne_u64_e32 0, v[3:4]
	s_wait_alu 0xfffe
	s_xor_b32 s22, exec_lo, s2
	s_cbranch_execz .LBB0_4
; %bb.3:                                ;   in Loop: Header=BB0_2 Depth=1
	s_cvt_f32_u32 s2, s20
	s_cvt_f32_u32 s23, s21
	s_sub_nc_u64 s[26:27], 0, s[20:21]
	s_wait_alu 0xfffe
	s_delay_alu instid0(SALU_CYCLE_1) | instskip(SKIP_1) | instid1(SALU_CYCLE_2)
	s_fmamk_f32 s2, s23, 0x4f800000, s2
	s_wait_alu 0xfffe
	v_s_rcp_f32 s2, s2
	s_delay_alu instid0(TRANS32_DEP_1) | instskip(SKIP_1) | instid1(SALU_CYCLE_2)
	s_mul_f32 s2, s2, 0x5f7ffffc
	s_wait_alu 0xfffe
	s_mul_f32 s23, s2, 0x2f800000
	s_wait_alu 0xfffe
	s_delay_alu instid0(SALU_CYCLE_2) | instskip(SKIP_1) | instid1(SALU_CYCLE_2)
	s_trunc_f32 s23, s23
	s_wait_alu 0xfffe
	s_fmamk_f32 s2, s23, 0xcf800000, s2
	s_cvt_u32_f32 s25, s23
	s_wait_alu 0xfffe
	s_delay_alu instid0(SALU_CYCLE_1) | instskip(SKIP_1) | instid1(SALU_CYCLE_2)
	s_cvt_u32_f32 s24, s2
	s_wait_alu 0xfffe
	s_mul_u64 s[28:29], s[26:27], s[24:25]
	s_wait_alu 0xfffe
	s_mul_hi_u32 s31, s24, s29
	s_mul_i32 s30, s24, s29
	s_mul_hi_u32 s2, s24, s28
	s_mul_i32 s33, s25, s28
	s_wait_alu 0xfffe
	s_add_nc_u64 s[30:31], s[2:3], s[30:31]
	s_mul_hi_u32 s23, s25, s28
	s_mul_hi_u32 s34, s25, s29
	s_add_co_u32 s2, s30, s33
	s_wait_alu 0xfffe
	s_add_co_ci_u32 s2, s31, s23
	s_mul_i32 s28, s25, s29
	s_add_co_ci_u32 s29, s34, 0
	s_wait_alu 0xfffe
	s_add_nc_u64 s[28:29], s[2:3], s[28:29]
	s_wait_alu 0xfffe
	v_add_co_u32 v4, s2, s24, s28
	s_delay_alu instid0(VALU_DEP_1) | instskip(SKIP_1) | instid1(VALU_DEP_1)
	s_cmp_lg_u32 s2, 0
	s_add_co_ci_u32 s25, s25, s29
	v_readfirstlane_b32 s24, v4
	s_wait_alu 0xfffe
	s_delay_alu instid0(VALU_DEP_1)
	s_mul_u64 s[26:27], s[26:27], s[24:25]
	s_wait_alu 0xfffe
	s_mul_hi_u32 s29, s24, s27
	s_mul_i32 s28, s24, s27
	s_mul_hi_u32 s2, s24, s26
	s_mul_i32 s30, s25, s26
	s_wait_alu 0xfffe
	s_add_nc_u64 s[28:29], s[2:3], s[28:29]
	s_mul_hi_u32 s23, s25, s26
	s_mul_hi_u32 s24, s25, s27
	s_wait_alu 0xfffe
	s_add_co_u32 s2, s28, s30
	s_add_co_ci_u32 s2, s29, s23
	s_mul_i32 s26, s25, s27
	s_add_co_ci_u32 s27, s24, 0
	s_wait_alu 0xfffe
	s_add_nc_u64 s[26:27], s[2:3], s[26:27]
	s_wait_alu 0xfffe
	v_add_co_u32 v4, s2, v4, s26
	s_delay_alu instid0(VALU_DEP_1) | instskip(SKIP_1) | instid1(VALU_DEP_1)
	s_cmp_lg_u32 s2, 0
	s_add_co_ci_u32 s2, s25, s27
	v_mul_hi_u32 v13, v5, v4
	s_wait_alu 0xfffe
	v_mad_co_u64_u32 v[7:8], null, v5, s2, 0
	v_mad_co_u64_u32 v[9:10], null, v6, v4, 0
	;; [unrolled: 1-line block ×3, first 2 shown]
	s_delay_alu instid0(VALU_DEP_3) | instskip(SKIP_1) | instid1(VALU_DEP_4)
	v_add_co_u32 v4, vcc_lo, v13, v7
	s_wait_alu 0xfffd
	v_add_co_ci_u32_e32 v7, vcc_lo, 0, v8, vcc_lo
	s_delay_alu instid0(VALU_DEP_2) | instskip(SKIP_1) | instid1(VALU_DEP_2)
	v_add_co_u32 v4, vcc_lo, v4, v9
	s_wait_alu 0xfffd
	v_add_co_ci_u32_e32 v4, vcc_lo, v7, v10, vcc_lo
	s_wait_alu 0xfffd
	v_add_co_ci_u32_e32 v7, vcc_lo, 0, v12, vcc_lo
	s_delay_alu instid0(VALU_DEP_2) | instskip(SKIP_1) | instid1(VALU_DEP_2)
	v_add_co_u32 v4, vcc_lo, v4, v11
	s_wait_alu 0xfffd
	v_add_co_ci_u32_e32 v9, vcc_lo, 0, v7, vcc_lo
	s_delay_alu instid0(VALU_DEP_2) | instskip(SKIP_1) | instid1(VALU_DEP_3)
	v_mul_lo_u32 v10, s21, v4
	v_mad_co_u64_u32 v[7:8], null, s20, v4, 0
	v_mul_lo_u32 v11, s20, v9
	s_delay_alu instid0(VALU_DEP_2) | instskip(NEXT) | instid1(VALU_DEP_2)
	v_sub_co_u32 v7, vcc_lo, v5, v7
	v_add3_u32 v8, v8, v11, v10
	s_delay_alu instid0(VALU_DEP_1) | instskip(SKIP_1) | instid1(VALU_DEP_1)
	v_sub_nc_u32_e32 v10, v6, v8
	s_wait_alu 0xfffd
	v_subrev_co_ci_u32_e64 v10, s2, s21, v10, vcc_lo
	v_add_co_u32 v11, s2, v4, 2
	s_wait_alu 0xf1ff
	v_add_co_ci_u32_e64 v12, s2, 0, v9, s2
	v_sub_co_u32 v13, s2, v7, s20
	v_sub_co_ci_u32_e32 v8, vcc_lo, v6, v8, vcc_lo
	s_wait_alu 0xf1ff
	v_subrev_co_ci_u32_e64 v10, s2, 0, v10, s2
	s_delay_alu instid0(VALU_DEP_3) | instskip(NEXT) | instid1(VALU_DEP_3)
	v_cmp_le_u32_e32 vcc_lo, s20, v13
	v_cmp_eq_u32_e64 s2, s21, v8
	s_wait_alu 0xfffd
	v_cndmask_b32_e64 v13, 0, -1, vcc_lo
	v_cmp_le_u32_e32 vcc_lo, s21, v10
	s_wait_alu 0xfffd
	v_cndmask_b32_e64 v14, 0, -1, vcc_lo
	v_cmp_le_u32_e32 vcc_lo, s20, v7
	;; [unrolled: 3-line block ×3, first 2 shown]
	s_wait_alu 0xfffd
	v_cndmask_b32_e64 v15, 0, -1, vcc_lo
	v_cmp_eq_u32_e32 vcc_lo, s21, v10
	s_wait_alu 0xf1ff
	s_delay_alu instid0(VALU_DEP_2)
	v_cndmask_b32_e64 v7, v15, v7, s2
	s_wait_alu 0xfffd
	v_cndmask_b32_e32 v10, v14, v13, vcc_lo
	v_add_co_u32 v13, vcc_lo, v4, 1
	s_wait_alu 0xfffd
	v_add_co_ci_u32_e32 v14, vcc_lo, 0, v9, vcc_lo
	s_delay_alu instid0(VALU_DEP_3) | instskip(SKIP_2) | instid1(VALU_DEP_3)
	v_cmp_ne_u32_e32 vcc_lo, 0, v10
	s_wait_alu 0xfffd
	v_cndmask_b32_e32 v10, v13, v11, vcc_lo
	v_cndmask_b32_e32 v8, v14, v12, vcc_lo
	v_cmp_ne_u32_e32 vcc_lo, 0, v7
	s_wait_alu 0xfffd
	s_delay_alu instid0(VALU_DEP_2)
	v_dual_cndmask_b32 v7, v4, v10 :: v_dual_cndmask_b32 v8, v9, v8
.LBB0_4:                                ;   in Loop: Header=BB0_2 Depth=1
	s_wait_alu 0xfffe
	s_and_not1_saveexec_b32 s2, s22
	s_cbranch_execz .LBB0_6
; %bb.5:                                ;   in Loop: Header=BB0_2 Depth=1
	v_cvt_f32_u32_e32 v4, s20
	s_sub_co_i32 s22, 0, s20
	s_delay_alu instid0(VALU_DEP_1) | instskip(NEXT) | instid1(TRANS32_DEP_1)
	v_rcp_iflag_f32_e32 v4, v4
	v_mul_f32_e32 v4, 0x4f7ffffe, v4
	s_delay_alu instid0(VALU_DEP_1) | instskip(SKIP_1) | instid1(VALU_DEP_1)
	v_cvt_u32_f32_e32 v4, v4
	s_wait_alu 0xfffe
	v_mul_lo_u32 v7, s22, v4
	s_delay_alu instid0(VALU_DEP_1) | instskip(NEXT) | instid1(VALU_DEP_1)
	v_mul_hi_u32 v7, v4, v7
	v_add_nc_u32_e32 v4, v4, v7
	s_delay_alu instid0(VALU_DEP_1) | instskip(NEXT) | instid1(VALU_DEP_1)
	v_mul_hi_u32 v4, v5, v4
	v_mul_lo_u32 v7, v4, s20
	v_add_nc_u32_e32 v8, 1, v4
	s_delay_alu instid0(VALU_DEP_2) | instskip(NEXT) | instid1(VALU_DEP_1)
	v_sub_nc_u32_e32 v7, v5, v7
	v_subrev_nc_u32_e32 v9, s20, v7
	v_cmp_le_u32_e32 vcc_lo, s20, v7
	s_wait_alu 0xfffd
	s_delay_alu instid0(VALU_DEP_2) | instskip(NEXT) | instid1(VALU_DEP_1)
	v_dual_cndmask_b32 v7, v7, v9 :: v_dual_cndmask_b32 v4, v4, v8
	v_cmp_le_u32_e32 vcc_lo, s20, v7
	s_delay_alu instid0(VALU_DEP_2) | instskip(SKIP_1) | instid1(VALU_DEP_1)
	v_add_nc_u32_e32 v8, 1, v4
	s_wait_alu 0xfffd
	v_dual_cndmask_b32 v7, v4, v8 :: v_dual_mov_b32 v8, v3
.LBB0_6:                                ;   in Loop: Header=BB0_2 Depth=1
	s_wait_alu 0xfffe
	s_or_b32 exec_lo, exec_lo, s2
	s_load_b64 s[22:23], s[14:15], 0x0
	s_delay_alu instid0(VALU_DEP_1)
	v_mul_lo_u32 v4, v8, s20
	v_mul_lo_u32 v11, v7, s21
	v_mad_co_u64_u32 v[9:10], null, v7, s20, 0
	s_add_nc_u64 s[16:17], s[16:17], 1
	s_add_nc_u64 s[14:15], s[14:15], 8
	s_wait_alu 0xfffe
	v_cmp_ge_u64_e64 s2, s[16:17], s[6:7]
	s_add_nc_u64 s[18:19], s[18:19], 8
	s_delay_alu instid0(VALU_DEP_2) | instskip(NEXT) | instid1(VALU_DEP_3)
	v_add3_u32 v4, v10, v11, v4
	v_sub_co_u32 v5, vcc_lo, v5, v9
	s_wait_alu 0xfffd
	s_delay_alu instid0(VALU_DEP_2) | instskip(SKIP_3) | instid1(VALU_DEP_2)
	v_sub_co_ci_u32_e32 v4, vcc_lo, v6, v4, vcc_lo
	s_and_b32 vcc_lo, exec_lo, s2
	s_wait_kmcnt 0x0
	v_mul_lo_u32 v6, s23, v5
	v_mul_lo_u32 v4, s22, v4
	v_mad_co_u64_u32 v[1:2], null, s22, v5, v[1:2]
	s_delay_alu instid0(VALU_DEP_1)
	v_add3_u32 v2, v6, v2, v4
	s_wait_alu 0xfffe
	s_cbranch_vccnz .LBB0_9
; %bb.7:                                ;   in Loop: Header=BB0_2 Depth=1
	v_dual_mov_b32 v5, v7 :: v_dual_mov_b32 v6, v8
	s_branch .LBB0_2
.LBB0_8:
	v_dual_mov_b32 v8, v6 :: v_dual_mov_b32 v7, v5
.LBB0_9:
	s_lshl_b64 s[2:3], s[6:7], 3
	v_mul_hi_u32 v3, 0x2222223, v0
	s_wait_alu 0xfffe
	s_add_nc_u64 s[2:3], s[12:13], s[2:3]
	s_load_b64 s[0:1], s[0:1], 0x20
	s_load_b64 s[2:3], s[2:3], 0x0
                                        ; implicit-def: $vgpr171
                                        ; implicit-def: $vgpr170
                                        ; implicit-def: $vgpr172
                                        ; implicit-def: $vgpr173
	s_delay_alu instid0(VALU_DEP_1) | instskip(NEXT) | instid1(VALU_DEP_1)
	v_mul_u32_u24_e32 v3, 0x78, v3
	v_sub_nc_u32_e32 v175, v0, v3
	s_delay_alu instid0(VALU_DEP_1)
	v_add_nc_u32_e32 v181, 0x78, v175
	v_add_nc_u32_e32 v180, 0xf0, v175
	;; [unrolled: 1-line block ×4, first 2 shown]
	s_wait_kmcnt 0x0
	v_cmp_gt_u64_e32 vcc_lo, s[0:1], v[7:8]
	v_mul_lo_u32 v3, s2, v8
	v_mul_lo_u32 v4, s3, v7
	v_mad_co_u64_u32 v[0:1], null, s2, v7, v[1:2]
	v_cmp_le_u64_e64 s0, s[0:1], v[7:8]
	s_delay_alu instid0(VALU_DEP_2) | instskip(NEXT) | instid1(VALU_DEP_2)
	v_add3_u32 v1, v4, v1, v3
	s_and_saveexec_b32 s1, s0
	s_wait_alu 0xfffe
	s_xor_b32 s0, exec_lo, s1
; %bb.10:
	v_add_nc_u32_e32 v171, 0x78, v175
	v_add_nc_u32_e32 v170, 0xf0, v175
	;; [unrolled: 1-line block ×4, first 2 shown]
; %bb.11:
	s_wait_alu 0xfffe
	s_or_saveexec_b32 s1, s0
	v_lshlrev_b64_e32 v[128:129], 4, v[0:1]
	v_add_nc_u32_e32 v188, 0x2d0, v175
	v_add_nc_u32_e32 v183, 0x5a0, v175
	v_add_nc_u32_e32 v189, 0x708, v175
	v_add_nc_u32_e32 v177, 0x870, v175
	v_add_nc_u32_e32 v187, 0x9d8, v175
	v_add_nc_u32_e32 v184, 0xca8, v175
	v_add_nc_u32_e32 v185, 0x348, v175
	v_add_nc_u32_e32 v191, 0x4b0, v175
	v_add_nc_u32_e32 v178, 0x618, v175
	v_or_b32_e32 v190, 0x780, v175
	v_add_nc_u32_e32 v186, 0xa50, v175
	v_add_nc_u32_e32 v193, 0xbb8, v175
	;; [unrolled: 1-line block ×6, first 2 shown]
                                        ; implicit-def: $vgpr2_vgpr3
                                        ; implicit-def: $vgpr6_vgpr7
                                        ; implicit-def: $vgpr10_vgpr11
                                        ; implicit-def: $vgpr14_vgpr15
                                        ; implicit-def: $vgpr18_vgpr19
                                        ; implicit-def: $vgpr30_vgpr31
                                        ; implicit-def: $vgpr38_vgpr39
                                        ; implicit-def: $vgpr26_vgpr27
                                        ; implicit-def: $vgpr34_vgpr35
                                        ; implicit-def: $vgpr46_vgpr47
                                        ; implicit-def: $vgpr22_vgpr23
                                        ; implicit-def: $vgpr42_vgpr43
                                        ; implicit-def: $vgpr58_vgpr59
                                        ; implicit-def: $vgpr62_vgpr63
                                        ; implicit-def: $vgpr74_vgpr75
                                        ; implicit-def: $vgpr90_vgpr91
                                        ; implicit-def: $vgpr70_vgpr71
                                        ; implicit-def: $vgpr98_vgpr99
                                        ; implicit-def: $vgpr82_vgpr83
                                        ; implicit-def: $vgpr94_vgpr95
                                        ; implicit-def: $vgpr50_vgpr51
                                        ; implicit-def: $vgpr54_vgpr55
                                        ; implicit-def: $vgpr66_vgpr67
                                        ; implicit-def: $vgpr78_vgpr79
                                        ; implicit-def: $vgpr102_vgpr103
                                        ; implicit-def: $vgpr110_vgpr111
                                        ; implicit-def: $vgpr114_vgpr115
                                        ; implicit-def: $vgpr118_vgpr119
                                        ; implicit-def: $vgpr106_vgpr107
                                        ; implicit-def: $vgpr86_vgpr87
	s_wait_alu 0xfffe
	s_xor_b32 exec_lo, exec_lo, s1
	s_cbranch_execz .LBB0_13
; %bb.12:
	v_mad_co_u64_u32 v[0:1], null, s8, v175, 0
	v_mad_co_u64_u32 v[2:3], null, s8, v179, 0
	;; [unrolled: 1-line block ×4, first 2 shown]
	v_add_nc_u32_e32 v13, 0x438, v175
	v_mad_co_u64_u32 v[16:17], null, s8, v177, 0
	v_mad_co_u64_u32 v[4:5], null, s9, v175, v[1:2]
	v_add_co_u32 v18, s0, s10, v128
	s_wait_alu 0xf1ff
	v_add_co_ci_u32_e64 v19, s0, s11, v129, s0
	v_mad_co_u64_u32 v[32:33], null, s8, v178, 0
	s_delay_alu instid0(VALU_DEP_4) | instskip(SKIP_4) | instid1(VALU_DEP_3)
	v_mad_co_u64_u32 v[8:9], null, s9, v179, v[3:4]
	v_mad_co_u64_u32 v[9:10], null, s8, v13, 0
	v_mov_b32_e32 v3, v7
	v_dual_mov_b32 v1, v4 :: v_dual_add_nc_u32 v26, 0xb40, v175
	v_mad_co_u64_u32 v[24:25], null, s8, v184, 0
	v_mad_co_u64_u32 v[4:5], null, s9, v188, v[3:4]
	v_mov_b32_e32 v5, v10
	v_mov_b32_e32 v3, v8
	v_lshlrev_b64_e32 v[0:1], 4, v[0:1]
	v_mad_co_u64_u32 v[22:23], null, s8, v26, 0
	s_delay_alu instid0(VALU_DEP_4) | instskip(SKIP_1) | instid1(VALU_DEP_4)
	v_mad_co_u64_u32 v[13:14], null, s9, v13, v[5:6]
	v_mov_b32_e32 v7, v4
	v_add_co_u32 v0, s0, v18, v0
	s_wait_alu 0xf1ff
	v_add_co_ci_u32_e64 v1, s0, v19, v1, s0
	v_mad_co_u64_u32 v[14:15], null, s8, v189, 0
	v_mov_b32_e32 v10, v13
	v_mad_co_u64_u32 v[47:48], null, s8, v194, 0
	v_mad_co_u64_u32 v[30:31], null, s8, v191, 0
	s_delay_alu instid0(VALU_DEP_3)
	v_lshlrev_b64_e32 v[8:9], 4, v[9:10]
	v_mov_b32_e32 v10, v17
	v_lshlrev_b64_e32 v[2:3], 4, v[2:3]
	v_mad_co_u64_u32 v[49:50], null, s8, v182, 0
	v_dual_mov_b32 v172, v179 :: v_dual_add_nc_u32 v53, 0x960, v175
	v_mov_b32_e32 v171, v181
	s_delay_alu instid0(VALU_DEP_4)
	v_add_co_u32 v4, s0, v18, v2
	s_wait_alu 0xf1ff
	v_add_co_ci_u32_e64 v5, s0, v19, v3, s0
	v_lshlrev_b64_e32 v[2:3], 4, v[6:7]
	v_mov_b32_e32 v6, v12
	s_clause 0x1
	global_load_b128 v[84:87], v[0:1], off
	global_load_b128 v[104:107], v[4:5], off
	v_mov_b32_e32 v170, v180
	v_dual_mov_b32 v173, v174 :: v_dual_add_nc_u32 v40, 0x8e8, v175
	v_mad_co_u64_u32 v[6:7], null, s9, v183, v[6:7]
	v_mov_b32_e32 v7, v15
	v_add_co_u32 v2, s0, v18, v2
	s_wait_alu 0xf1ff
	v_add_co_ci_u32_e64 v3, s0, v19, v3, s0
	s_delay_alu instid0(VALU_DEP_3) | instskip(SKIP_4) | instid1(VALU_DEP_3)
	v_mad_co_u64_u32 v[20:21], null, s9, v189, v[7:8]
	v_mov_b32_e32 v12, v6
	v_add_co_u32 v6, s0, v18, v8
	s_wait_alu 0xf1ff
	v_add_co_ci_u32_e64 v7, s0, v19, v9, s0
	v_lshlrev_b64_e32 v[8:9], 4, v[11:12]
	v_mov_b32_e32 v15, v20
	v_mad_co_u64_u32 v[20:21], null, s8, v187, 0
	v_mad_co_u64_u32 v[10:11], null, s9, v177, v[10:11]
	s_delay_alu instid0(VALU_DEP_3)
	v_lshlrev_b64_e32 v[12:13], 4, v[14:15]
	v_add_co_u32 v8, s0, v18, v8
	v_mad_co_u64_u32 v[36:37], null, s8, v40, 0
	v_mov_b32_e32 v11, v21
	v_mov_b32_e32 v17, v10
	s_wait_alu 0xf1ff
	v_add_co_ci_u32_e64 v9, s0, v19, v9, s0
	v_add_co_u32 v10, s0, v18, v12
	v_mad_co_u64_u32 v[14:15], null, s9, v187, v[11:12]
	v_mov_b32_e32 v15, v23
	s_wait_alu 0xf1ff
	v_add_co_ci_u32_e64 v11, s0, v19, v13, s0
	v_lshlrev_b64_e32 v[12:13], 4, v[16:17]
	v_mov_b32_e32 v17, v25
	v_mov_b32_e32 v21, v14
	v_mad_co_u64_u32 v[14:15], null, s9, v26, v[15:16]
	s_delay_alu instid0(VALU_DEP_4) | instskip(NEXT) | instid1(VALU_DEP_3)
	v_add_co_u32 v12, s0, v18, v12
	v_lshlrev_b64_e32 v[15:16], 4, v[20:21]
	v_mad_co_u64_u32 v[20:21], null, s8, v181, 0
	s_wait_alu 0xf1ff
	v_add_co_ci_u32_e64 v13, s0, v19, v13, s0
	v_mov_b32_e32 v23, v14
	s_delay_alu instid0(VALU_DEP_4)
	v_add_co_u32 v14, s0, v18, v15
	v_mad_co_u64_u32 v[25:26], null, s9, v184, v[17:18]
	s_wait_alu 0xf1ff
	v_add_co_ci_u32_e64 v15, s0, v19, v16, s0
	v_mov_b32_e32 v16, v21
	v_lshlrev_b64_e32 v[21:22], 4, v[22:23]
	v_mad_co_u64_u32 v[26:27], null, s8, v174, 0
	s_delay_alu instid0(VALU_DEP_3) | instskip(NEXT) | instid1(VALU_DEP_3)
	v_mad_co_u64_u32 v[28:29], null, s9, v181, v[16:17]
	v_add_co_u32 v16, s0, v18, v21
	s_wait_alu 0xf1ff
	s_delay_alu instid0(VALU_DEP_4) | instskip(SKIP_1) | instid1(VALU_DEP_4)
	v_add_co_ci_u32_e64 v17, s0, v19, v22, s0
	v_lshlrev_b64_e32 v[22:23], 4, v[24:25]
	v_dual_mov_b32 v24, v27 :: v_dual_mov_b32 v21, v28
	v_mad_co_u64_u32 v[28:29], null, s8, v185, 0
	s_delay_alu instid0(VALU_DEP_2) | instskip(NEXT) | instid1(VALU_DEP_3)
	v_mad_co_u64_u32 v[24:25], null, s9, v174, v[24:25]
	v_lshlrev_b64_e32 v[20:21], 4, v[20:21]
	v_add_co_u32 v22, s0, v18, v22
	s_delay_alu instid0(VALU_DEP_4)
	v_mov_b32_e32 v25, v29
	s_wait_alu 0xf1ff
	v_add_co_ci_u32_e64 v23, s0, v19, v23, s0
	v_mov_b32_e32 v27, v24
	v_add_co_u32 v20, s0, v18, v20
	v_mad_co_u64_u32 v[24:25], null, s9, v185, v[25:26]
	s_delay_alu instid0(VALU_DEP_3) | instskip(SKIP_3) | instid1(VALU_DEP_2)
	v_lshlrev_b64_e32 v[26:27], 4, v[26:27]
	v_mov_b32_e32 v25, v31
	s_wait_alu 0xf1ff
	v_add_co_ci_u32_e64 v21, s0, v19, v21, s0
	v_mad_co_u64_u32 v[34:35], null, s9, v191, v[25:26]
	v_mov_b32_e32 v29, v24
	v_add_co_u32 v24, s0, v18, v26
	s_wait_alu 0xf1ff
	v_add_co_ci_u32_e64 v25, s0, v19, v27, s0
	s_delay_alu instid0(VALU_DEP_3) | instskip(SKIP_3) | instid1(VALU_DEP_3)
	v_lshlrev_b64_e32 v[26:27], 4, v[28:29]
	v_mov_b32_e32 v31, v34
	v_mad_co_u64_u32 v[34:35], null, s8, v190, 0
	v_mov_b32_e32 v28, v33
	v_lshlrev_b64_e32 v[30:31], 4, v[30:31]
	v_add_co_u32 v26, s0, v18, v26
	s_delay_alu instid0(VALU_DEP_3) | instskip(SKIP_3) | instid1(VALU_DEP_2)
	v_mad_co_u64_u32 v[28:29], null, s9, v178, v[28:29]
	v_mov_b32_e32 v29, v35
	s_wait_alu 0xf1ff
	v_add_co_ci_u32_e64 v27, s0, v19, v27, s0
	v_mad_co_u64_u32 v[38:39], null, s9, v190, v[29:30]
	s_delay_alu instid0(VALU_DEP_4) | instskip(SKIP_3) | instid1(VALU_DEP_3)
	v_mov_b32_e32 v33, v28
	v_add_co_u32 v28, s0, v18, v30
	s_wait_alu 0xf1ff
	v_add_co_ci_u32_e64 v29, s0, v19, v31, s0
	v_lshlrev_b64_e32 v[30:31], 4, v[32:33]
	v_dual_mov_b32 v32, v37 :: v_dual_mov_b32 v35, v38
	v_mad_co_u64_u32 v[38:39], null, s8, v186, 0
	s_delay_alu instid0(VALU_DEP_2) | instskip(NEXT) | instid1(VALU_DEP_3)
	v_mad_co_u64_u32 v[32:33], null, s9, v40, v[32:33]
	v_lshlrev_b64_e32 v[33:34], 4, v[34:35]
	v_mad_co_u64_u32 v[40:41], null, s8, v193, 0
	s_delay_alu instid0(VALU_DEP_4)
	v_mov_b32_e32 v35, v39
	v_add_co_u32 v30, s0, v18, v30
	v_mov_b32_e32 v37, v32
	s_wait_alu 0xf1ff
	v_add_co_ci_u32_e64 v31, s0, v19, v31, s0
	v_mad_co_u64_u32 v[42:43], null, s9, v186, v[35:36]
	v_add_co_u32 v32, s0, v18, v33
	v_lshlrev_b64_e32 v[35:36], 4, v[36:37]
	s_wait_alu 0xf1ff
	v_add_co_ci_u32_e64 v33, s0, v19, v34, s0
	v_mov_b32_e32 v34, v41
	v_mad_co_u64_u32 v[43:44], null, s8, v176, 0
	v_mov_b32_e32 v39, v42
	s_delay_alu instid0(VALU_DEP_3) | instskip(SKIP_4) | instid1(VALU_DEP_4)
	v_mad_co_u64_u32 v[45:46], null, s9, v193, v[34:35]
	v_add_co_u32 v34, s0, v18, v35
	s_wait_alu 0xf1ff
	v_add_co_ci_u32_e64 v35, s0, v19, v36, s0
	v_lshlrev_b64_e32 v[36:37], 4, v[38:39]
	v_dual_mov_b32 v38, v44 :: v_dual_mov_b32 v41, v45
	v_mad_co_u64_u32 v[45:46], null, s8, v180, 0
	s_delay_alu instid0(VALU_DEP_2) | instskip(NEXT) | instid1(VALU_DEP_3)
	v_mad_co_u64_u32 v[38:39], null, s9, v176, v[38:39]
	v_lshlrev_b64_e32 v[39:40], 4, v[40:41]
	v_add_co_u32 v36, s0, v18, v36
	s_delay_alu instid0(VALU_DEP_4)
	v_mov_b32_e32 v41, v46
	s_wait_alu 0xf1ff
	v_add_co_ci_u32_e64 v37, s0, v19, v37, s0
	v_mov_b32_e32 v44, v38
	v_add_co_u32 v38, s0, v18, v39
	v_mad_co_u64_u32 v[41:42], null, s9, v180, v[41:42]
	s_delay_alu instid0(VALU_DEP_3) | instskip(SKIP_3) | instid1(VALU_DEP_3)
	v_lshlrev_b64_e32 v[42:43], 4, v[43:44]
	s_wait_alu 0xf1ff
	v_add_co_ci_u32_e64 v39, s0, v19, v40, s0
	v_mov_b32_e32 v40, v48
	v_add_co_u32 v120, s0, v18, v42
	s_wait_alu 0xf1ff
	v_add_co_ci_u32_e64 v121, s0, v19, v43, s0
	v_mad_co_u64_u32 v[43:44], null, s8, v192, 0
	v_mad_co_u64_u32 v[51:52], null, s9, v194, v[40:41]
	v_mov_b32_e32 v46, v41
	v_mov_b32_e32 v42, v50
	v_add_nc_u32_e32 v52, 0x7f8, v175
	s_delay_alu instid0(VALU_DEP_3) | instskip(NEXT) | instid1(VALU_DEP_3)
	v_lshlrev_b64_e32 v[40:41], 4, v[45:46]
	v_mad_co_u64_u32 v[45:46], null, s9, v182, v[42:43]
	v_dual_mov_b32 v48, v51 :: v_dual_add_nc_u32 v51, 0x690, v175
	v_mov_b32_e32 v42, v44
	s_delay_alu instid0(VALU_DEP_4)
	v_add_co_u32 v122, s0, v18, v40
	s_wait_alu 0xf1ff
	v_add_co_ci_u32_e64 v123, s0, v19, v41, s0
	v_lshlrev_b64_e32 v[40:41], 4, v[47:48]
	v_mov_b32_e32 v50, v45
	v_mad_co_u64_u32 v[45:46], null, s8, v51, 0
	v_mad_co_u64_u32 v[47:48], null, s9, v192, v[42:43]
	s_delay_alu instid0(VALU_DEP_4)
	v_add_co_u32 v124, s0, v18, v40
	s_wait_alu 0xf1ff
	v_add_co_ci_u32_e64 v125, s0, v19, v41, s0
	v_lshlrev_b64_e32 v[40:41], 4, v[49:50]
	v_mov_b32_e32 v42, v46
	v_mov_b32_e32 v44, v47
	v_mad_co_u64_u32 v[47:48], null, s8, v52, 0
	s_delay_alu instid0(VALU_DEP_4) | instskip(NEXT) | instid1(VALU_DEP_4)
	v_add_co_u32 v126, s0, v18, v40
	v_mad_co_u64_u32 v[49:50], null, s9, v51, v[42:43]
	s_wait_alu 0xf1ff
	v_add_co_ci_u32_e64 v127, s0, v19, v41, s0
	v_lshlrev_b64_e32 v[41:42], 4, v[43:44]
	v_mad_co_u64_u32 v[43:44], null, s8, v53, 0
	v_mov_b32_e32 v40, v48
	v_mov_b32_e32 v46, v49
	s_delay_alu instid0(VALU_DEP_4) | instskip(NEXT) | instid1(VALU_DEP_3)
	v_add_co_u32 v130, s0, v18, v41
	v_mad_co_u64_u32 v[50:51], null, s9, v52, v[40:41]
	s_wait_alu 0xf1ff
	v_add_co_ci_u32_e64 v131, s0, v19, v42, s0
	v_dual_mov_b32 v42, v44 :: v_dual_add_nc_u32 v51, 0xac8, v175
	v_add_nc_u32_e32 v52, 0xc30, v175
	v_lshlrev_b64_e32 v[40:41], 4, v[45:46]
	v_mov_b32_e32 v48, v50
	s_delay_alu instid0(VALU_DEP_4)
	v_mad_co_u64_u32 v[44:45], null, s9, v53, v[42:43]
	v_mad_co_u64_u32 v[45:46], null, s8, v51, 0
	;; [unrolled: 1-line block ×3, first 2 shown]
	v_add_nc_u32_e32 v53, 0xd98, v175
	v_add_co_u32 v132, s0, v18, v40
	s_wait_alu 0xf1ff
	v_add_co_ci_u32_e64 v133, s0, v19, v41, s0
	v_lshlrev_b64_e32 v[40:41], 4, v[47:48]
	v_mad_co_u64_u32 v[47:48], null, s8, v53, 0
	v_mov_b32_e32 v42, v46
	v_mov_b32_e32 v46, v50
	s_delay_alu instid0(VALU_DEP_4) | instskip(NEXT) | instid1(VALU_DEP_3)
	v_add_co_u32 v134, s0, v18, v40
	v_mad_co_u64_u32 v[50:51], null, s9, v51, v[42:43]
	s_delay_alu instid0(VALU_DEP_3)
	v_mad_co_u64_u32 v[51:52], null, s9, v52, v[46:47]
	s_wait_alu 0xf1ff
	v_add_co_ci_u32_e64 v135, s0, v19, v41, s0
	v_lshlrev_b64_e32 v[41:42], 4, v[43:44]
	v_mov_b32_e32 v40, v48
	v_mov_b32_e32 v46, v50
	v_mov_b32_e32 v50, v51
	s_delay_alu instid0(VALU_DEP_3) | instskip(SKIP_1) | instid1(VALU_DEP_4)
	v_mad_co_u64_u32 v[43:44], null, s9, v53, v[40:41]
	v_add_co_u32 v136, s0, v18, v41
	v_lshlrev_b64_e32 v[40:41], 4, v[45:46]
	s_wait_alu 0xf1ff
	v_add_co_ci_u32_e64 v137, s0, v19, v42, s0
	v_lshlrev_b64_e32 v[0:1], 4, v[49:50]
	v_mov_b32_e32 v48, v43
	s_delay_alu instid0(VALU_DEP_4) | instskip(SKIP_2) | instid1(VALU_DEP_3)
	v_add_co_u32 v4, s0, v18, v40
	s_wait_alu 0xf1ff
	v_add_co_ci_u32_e64 v5, s0, v19, v41, s0
	v_lshlrev_b64_e32 v[40:41], 4, v[47:48]
	v_add_co_u32 v0, s0, v18, v0
	s_wait_alu 0xf1ff
	v_add_co_ci_u32_e64 v1, s0, v19, v1, s0
	s_delay_alu instid0(VALU_DEP_3)
	v_add_co_u32 v138, s0, v18, v40
	s_wait_alu 0xf1ff
	v_add_co_ci_u32_e64 v139, s0, v19, v41, s0
	s_clause 0x1b
	global_load_b128 v[116:119], v[2:3], off
	global_load_b128 v[112:115], v[6:7], off
	;; [unrolled: 1-line block ×28, first 2 shown]
.LBB0_13:
	s_or_b32 exec_lo, exec_lo, s1
	s_wait_loadcnt 0x16
	v_add_f64_e32 v[134:135], v[66:67], v[102:103]
	s_wait_loadcnt 0x14
	v_add_f64_e32 v[146:147], v[50:51], v[114:115]
	v_add_f64_e32 v[148:149], v[64:65], v[100:101]
	;; [unrolled: 1-line block ×8, first 2 shown]
	v_add_f64_e64 v[195:196], v[112:113], -v[100:101]
	v_add_f64_e64 v[197:198], v[100:101], -v[112:113]
	s_wait_loadcnt 0xd
	v_add_f64_e32 v[203:204], v[60:61], v[88:89]
	v_add_f64_e32 v[205:206], v[96:97], v[92:93]
	s_wait_loadcnt 0xb
	v_add_f64_e32 v[207:208], v[40:41], v[96:97]
	v_add_f64_e64 v[132:133], v[100:101], -v[64:65]
	v_add_f64_e32 v[209:210], v[62:63], v[90:91]
	v_add_f64_e64 v[213:214], v[114:115], -v[102:103]
	v_add_f64_e64 v[215:216], v[102:103], -v[114:115]
	;; [unrolled: 1-line block ×4, first 2 shown]
	v_add_f64_e32 v[114:115], v[98:99], v[94:95]
	v_add_f64_e32 v[136:137], v[116:117], v[84:85]
	v_add_f64_e32 v[152:153], v[78:79], v[110:111]
	v_add_f64_e32 v[154:155], v[54:55], v[118:119]
	v_add_f64_e64 v[122:123], v[110:111], -v[78:79]
	v_add_f64_e64 v[164:165], v[118:119], -v[110:111]
	;; [unrolled: 1-line block ×4, first 2 shown]
	v_add_f64_e32 v[223:224], v[56:57], v[72:73]
	s_wait_loadcnt 0xa
	v_add_f64_e32 v[227:228], v[22:23], v[70:71]
	s_mov_b32 s2, 0x134454ff
	s_mov_b32 s3, 0xbfee6f0e
	;; [unrolled: 1-line block ×3, first 2 shown]
	s_wait_alu 0xfffe
	s_mov_b32 s0, s2
	v_add_f64_e64 v[158:159], v[116:117], -v[108:109]
	v_add_f64_e64 v[160:161], v[52:53], -v[76:77]
	;; [unrolled: 1-line block ×4, first 2 shown]
	v_fma_f64 v[134:135], v[134:135], -0.5, v[106:107]
	v_fma_f64 v[106:107], v[146:147], -0.5, v[106:107]
	;; [unrolled: 1-line block ×3, first 2 shown]
	v_add_f64_e32 v[148:149], v[20:21], v[68:69]
	v_add_f64_e32 v[110:111], v[110:111], v[138:139]
	v_fma_f64 v[104:105], v[156:157], -0.5, v[104:105]
	v_add_f64_e64 v[201:202], v[64:65], -v[48:49]
	v_add_f64_e32 v[211:212], v[42:43], v[98:99]
	v_add_f64_e64 v[219:220], v[50:51], -v[66:67]
	v_add_f64_e64 v[221:222], v[66:67], -v[50:51]
	v_add_f64_e32 v[225:226], v[58:59], v[74:75]
	v_add_f64_e64 v[229:230], v[96:97], -v[88:89]
	v_add_f64_e64 v[156:157], v[98:99], -v[42:43]
	;; [unrolled: 1-line block ×3, first 2 shown]
	v_add_f64_e32 v[140:141], v[100:101], v[140:141]
	v_add_f64_e32 v[102:103], v[102:103], v[142:143]
	v_add_f64_e64 v[100:101], v[96:97], -v[40:41]
	v_add_f64_e64 v[96:97], v[98:99], -v[90:91]
	;; [unrolled: 1-line block ×4, first 2 shown]
	v_fma_f64 v[144:145], v[144:145], -0.5, v[84:85]
	v_fma_f64 v[150:151], v[150:151], -0.5, v[84:85]
	v_add_f64_e64 v[84:85], v[88:89], -v[60:61]
	v_fma_f64 v[203:204], v[203:204], -0.5, v[92:93]
	v_fma_f64 v[92:93], v[207:208], -0.5, v[92:93]
	;; [unrolled: 1-line block ×3, first 2 shown]
	v_add_f64_e32 v[88:89], v[88:89], v[205:206]
	v_add_f64_e32 v[90:91], v[90:91], v[114:115]
	v_add_f64_e64 v[120:121], v[118:119], -v[54:55]
	v_add_f64_e64 v[162:163], v[108:109], -v[116:117]
	;; [unrolled: 1-line block ×4, first 2 shown]
	v_add_f64_e32 v[108:109], v[108:109], v[136:137]
	v_add_f64_e32 v[136:137], v[68:69], v[80:81]
	;; [unrolled: 1-line block ×3, first 2 shown]
	v_fma_f64 v[152:153], v[152:153], -0.5, v[86:87]
	v_fma_f64 v[154:155], v[154:155], -0.5, v[86:87]
	;; [unrolled: 1-line block ×3, first 2 shown]
	s_wait_alu 0xfffe
	v_fma_f64 v[209:210], v[217:218], s[0:1], v[134:135]
	v_fma_f64 v[114:115], v[132:133], s[2:3], v[106:107]
	;; [unrolled: 1-line block ×3, first 2 shown]
	v_fma_f64 v[148:149], v[148:149], -0.5, v[80:81]
	v_fma_f64 v[80:81], v[227:228], -0.5, v[82:83]
	v_add_f64_e32 v[78:79], v[78:79], v[110:111]
	v_fma_f64 v[106:107], v[132:133], s[0:1], v[106:107]
	v_fma_f64 v[110:111], v[130:131], s[0:1], v[104:105]
	;; [unrolled: 1-line block ×3, first 2 shown]
	v_add_f64_e64 v[227:228], v[40:41], -v[60:61]
	v_add_f64_e64 v[166:167], v[76:77], -v[52:53]
	s_mov_b32 s14, 0x4755a5e
	s_mov_b32 s15, 0xbfe2cf23
	;; [unrolled: 1-line block ×4, first 2 shown]
	v_add_f64_e64 v[116:117], v[116:117], -v[52:53]
	v_fma_f64 v[94:95], v[211:212], -0.5, v[94:95]
	v_add_f64_e64 v[211:212], v[68:69], -v[72:73]
	v_add_f64_e64 v[233:234], v[72:73], -v[68:69]
	v_fma_f64 v[223:224], v[225:226], -0.5, v[82:83]
	v_add_f64_e64 v[82:83], v[70:71], -v[74:75]
	v_add_f64_e32 v[158:159], v[160:161], v[158:159]
	v_add_f64_e64 v[160:161], v[60:61], -v[40:41]
	v_add_f64_e32 v[164:165], v[168:169], v[164:165]
	v_add_f64_e32 v[168:169], v[199:200], v[195:196]
	v_add_f64_e64 v[195:196], v[20:21], -v[56:57]
	v_add_f64_e32 v[199:200], v[219:220], v[213:214]
	v_add_f64_e64 v[213:214], v[56:57], -v[20:21]
	;; [unrolled: 2-line block ×3, first 2 shown]
	v_add_f64_e32 v[215:216], v[221:222], v[215:216]
	v_fma_f64 v[104:105], v[130:131], s[2:3], v[104:105]
	v_add_f64_e64 v[225:226], v[74:75], -v[70:71]
	v_add_f64_e32 v[108:109], v[76:77], v[108:109]
	v_add_f64_e64 v[76:77], v[74:75], -v[58:59]
	v_add_f64_e32 v[138:139], v[74:75], v[138:139]
	v_add_f64_e64 v[74:75], v[70:71], -v[22:23]
	v_add_f64_e64 v[70:71], v[68:69], -v[20:21]
	s_wait_alu 0xfffe
	v_fma_f64 v[209:210], v[132:133], s[6:7], v[209:210]
	v_fma_f64 v[114:115], v[217:218], s[6:7], v[114:115]
	;; [unrolled: 1-line block ×3, first 2 shown]
	v_add_f64_e32 v[124:125], v[126:127], v[124:125]
	v_fma_f64 v[126:127], v[120:121], s[2:3], v[144:145]
	v_fma_f64 v[146:147], v[112:113], s[0:1], v[146:147]
	;; [unrolled: 1-line block ×5, first 2 shown]
	v_add_f64_e32 v[221:222], v[227:228], v[229:230]
	v_fma_f64 v[229:230], v[122:123], s[0:1], v[150:151]
	v_fma_f64 v[150:151], v[122:123], s[2:3], v[150:151]
	v_add_f64_e32 v[162:163], v[166:167], v[162:163]
	v_add_f64_e64 v[166:167], v[62:63], -v[42:43]
	v_fma_f64 v[144:145], v[120:121], s[0:1], v[144:145]
	s_mov_b32 s12, 0x372fe950
	s_mov_b32 s13, 0x3fd3c6ef
	v_add_f64_e32 v[136:137], v[72:73], v[136:137]
	v_add_f64_e64 v[72:73], v[72:73], -v[56:57]
	s_wait_loadcnt 0x2
	v_add_f64_e32 v[217:218], v[10:11], v[18:19]
	s_wait_loadcnt 0x0
	v_add_f64_e32 v[134:135], v[2:3], v[38:39]
	v_add_f64_e32 v[64:65], v[64:65], v[140:141]
	;; [unrolled: 1-line block ×4, first 2 shown]
	v_fma_f64 v[102:103], v[116:117], s[0:1], v[152:153]
	v_fma_f64 v[140:141], v[116:117], s[2:3], v[152:153]
	v_fma_f64 v[152:153], v[118:119], s[2:3], v[154:155]
	v_fma_f64 v[154:155], v[118:119], s[0:1], v[154:155]
	v_add_f64_e32 v[195:196], v[195:196], v[211:212]
	v_add_f64_e32 v[211:212], v[213:214], v[233:234]
	v_fma_f64 v[213:214], v[156:157], s[2:3], v[203:204]
	v_fma_f64 v[203:204], v[156:157], s[0:1], v[203:204]
	;; [unrolled: 1-line block ×3, first 2 shown]
	v_add_f64_e32 v[82:83], v[201:202], v[82:83]
	v_fma_f64 v[92:93], v[142:143], s[2:3], v[92:93]
	v_fma_f64 v[104:105], v[112:113], s[6:7], v[104:105]
	v_add_f64_e64 v[68:69], v[42:43], -v[62:63]
	v_add_f64_e64 v[219:220], v[58:59], -v[22:23]
	v_fma_f64 v[209:210], v[199:200], s[12:13], v[209:210]
	v_fma_f64 v[114:115], v[215:216], s[12:13], v[114:115]
	;; [unrolled: 1-line block ×3, first 2 shown]
	v_add_f64_e32 v[227:228], v[8:9], v[16:17]
	v_fma_f64 v[205:206], v[84:85], s[2:3], v[94:95]
	v_add_f64_e32 v[60:61], v[60:61], v[88:89]
	v_add_f64_e32 v[62:63], v[62:63], v[90:91]
	v_fma_f64 v[88:89], v[197:198], s[12:13], v[110:111]
	v_fma_f64 v[90:91], v[215:216], s[12:13], v[106:107]
	;; [unrolled: 1-line block ×6, first 2 shown]
	v_add_f64_e32 v[58:59], v[58:59], v[138:139]
	v_fma_f64 v[130:131], v[70:71], s[0:1], v[223:224]
	v_fma_f64 v[138:139], v[120:121], s[14:15], v[229:230]
	v_fma_f64 v[120:121], v[120:121], s[6:7], v[150:151]
	v_add_f64_e32 v[98:99], v[166:167], v[98:99]
	v_add_f64_e32 v[166:167], v[0:1], v[36:37]
	v_fma_f64 v[122:123], v[122:123], s[6:7], v[144:145]
	v_add_f64_e32 v[56:57], v[56:57], v[136:137]
	v_fma_f64 v[132:133], v[72:73], s[2:3], v[80:81]
	v_fma_f64 v[136:137], v[74:75], s[2:3], v[86:87]
	v_add_f64_e32 v[52:53], v[52:53], v[108:109]
	v_fma_f64 v[102:103], v[118:119], s[6:7], v[102:103]
	v_fma_f64 v[118:119], v[118:119], s[14:15], v[140:141]
	;; [unrolled: 1-line block ×4, first 2 shown]
	v_add_f64_e32 v[54:55], v[54:55], v[78:79]
	v_add_f64_e32 v[48:49], v[48:49], v[64:65]
	v_fma_f64 v[78:79], v[142:143], s[14:15], v[213:214]
	v_fma_f64 v[108:109], v[142:143], s[6:7], v[203:204]
	v_fma_f64 v[142:143], v[156:157], s[14:15], v[231:232]
	v_fma_f64 v[146:147], v[76:77], s[0:1], v[148:149]
	v_fma_f64 v[92:93], v[156:157], s[6:7], v[92:93]
	v_fma_f64 v[154:155], v[217:218], -0.5, v[34:35]
	v_add_f64_e64 v[156:157], v[36:37], -v[0:1]
	v_fma_f64 v[104:105], v[197:198], s[12:13], v[104:105]
	v_mul_f64_e32 v[64:65], s[14:15], v[209:210]
	v_mul_f64_e32 v[144:145], s[2:3], v[114:115]
	;; [unrolled: 1-line block ×3, first 2 shown]
	v_add_f64_e64 v[197:198], v[16:17], -v[8:9]
	v_fma_f64 v[134:135], v[134:135], -0.5, v[34:35]
	s_mov_b32 s18, 0x9b97f4a8
	s_mov_b32 s17, 0xbfd3c6ef
	;; [unrolled: 1-line block ×6, first 2 shown]
	v_fma_f64 v[126:127], v[100:101], s[0:1], v[207:208]
	v_add_f64_e32 v[50:51], v[50:51], v[66:67]
	v_fma_f64 v[66:67], v[100:101], s[2:3], v[207:208]
	v_fma_f64 v[152:153], v[100:101], s[6:7], v[205:206]
	v_mul_f64_e32 v[199:200], s[0:1], v[88:89]
	v_mul_f64_e32 v[203:204], s[2:3], v[90:91]
	v_fma_f64 v[94:95], v[100:101], s[14:15], v[94:95]
	v_fma_f64 v[100:101], v[158:159], s[12:13], v[106:107]
	s_wait_alu 0xfffe
	v_mul_f64_e32 v[90:91], s[16:17], v[90:91]
	v_fma_f64 v[106:107], v[168:169], s[12:13], v[110:111]
	v_mul_f64_e32 v[110:111], s[14:15], v[112:113]
	v_mul_f64_e32 v[112:113], s[20:21], v[112:113]
	v_fma_f64 v[86:87], v[74:75], s[0:1], v[86:87]
	v_fma_f64 v[130:131], v[72:73], s[6:7], v[130:131]
	;; [unrolled: 1-line block ×4, first 2 shown]
	v_fma_f64 v[162:163], v[227:228], -0.5, v[32:33]
	v_add_f64_e64 v[168:169], v[38:39], -v[2:3]
	v_fma_f64 v[122:123], v[158:159], s[12:13], v[122:123]
	v_fma_f64 v[148:149], v[76:77], s[2:3], v[148:149]
	;; [unrolled: 1-line block ×3, first 2 shown]
	v_add_f64_e64 v[205:206], v[18:19], -v[10:11]
	v_fma_f64 v[166:167], v[166:167], -0.5, v[32:33]
	v_add_f64_e32 v[219:220], v[219:220], v[225:226]
	v_fma_f64 v[80:81], v[72:73], s[0:1], v[80:81]
	v_fma_f64 v[132:133], v[70:71], s[6:7], v[132:133]
	;; [unrolled: 1-line block ×3, first 2 shown]
	v_add_f64_e32 v[207:208], v[12:13], v[28:29]
	v_fma_f64 v[102:103], v[164:165], s[12:13], v[102:103]
	v_fma_f64 v[118:119], v[164:165], s[12:13], v[118:119]
	;; [unrolled: 1-line block ×8, first 2 shown]
	v_add_f64_e64 v[146:147], v[38:39], -v[18:19]
	v_add_f64_e32 v[150:151], v[4:5], v[24:25]
	v_add_f64_e64 v[164:165], v[2:3], -v[10:11]
	v_fma_f64 v[201:202], v[156:157], s[0:1], v[154:155]
	v_add_f64_e64 v[209:210], v[18:19], -v[38:39]
	v_add_f64_e64 v[213:214], v[10:11], -v[2:3]
	v_fma_f64 v[215:216], v[197:198], s[2:3], v[134:135]
	v_fma_f64 v[134:135], v[197:198], s[0:1], v[134:135]
	v_fma_f64 v[154:155], v[156:157], s[2:3], v[154:155]
	v_fma_f64 v[114:115], v[114:115], s[12:13], v[199:200]
	v_fma_f64 v[199:200], v[104:105], s[16:17], v[203:204]
	v_add_f64_e32 v[203:204], v[14:15], v[30:31]
	v_fma_f64 v[90:91], v[104:105], s[0:1], v[90:91]
	v_fma_f64 v[104:105], v[106:107], s[20:21], v[110:111]
	v_add_f64_e32 v[110:111], v[6:7], v[26:27]
	v_fma_f64 v[106:107], v[106:107], s[6:7], v[112:113]
	v_fma_f64 v[76:77], v[76:77], s[6:7], v[86:87]
	;; [unrolled: 1-line block ×3, first 2 shown]
	v_add_f64_e64 v[112:113], v[36:37], -v[16:17]
	v_add_f64_e64 v[130:131], v[0:1], -v[8:9]
	v_fma_f64 v[217:218], v[168:169], s[2:3], v[162:163]
	v_fma_f64 v[74:75], v[74:75], s[6:7], v[148:149]
	;; [unrolled: 1-line block ×3, first 2 shown]
	v_add_f64_e64 v[148:149], v[16:17], -v[36:37]
	v_add_f64_e64 v[158:159], v[8:9], -v[0:1]
	v_fma_f64 v[223:224], v[205:206], s[0:1], v[166:167]
	v_fma_f64 v[70:71], v[70:71], s[14:15], v[80:81]
	;; [unrolled: 1-line block ×4, first 2 shown]
	v_fma_f64 v[136:137], v[207:208], -0.5, v[44:45]
	v_add_f64_e64 v[207:208], v[26:27], -v[6:7]
	v_fma_f64 v[142:143], v[160:161], s[12:13], v[142:143]
	v_fma_f64 v[92:93], v[160:161], s[12:13], v[92:93]
	v_add_f64_e32 v[160:161], v[24:25], v[44:45]
	v_add_f64_e32 v[32:33], v[36:37], v[32:33]
	v_add_f64_e64 v[36:37], v[30:31], -v[14:15]
	v_fma_f64 v[124:125], v[211:212], s[12:13], v[124:125]
	v_fma_f64 v[162:163], v[168:169], s[0:1], v[162:163]
	;; [unrolled: 1-line block ×3, first 2 shown]
	v_fma_f64 v[44:45], v[150:151], -0.5, v[44:45]
	v_add_f64_e32 v[146:147], v[164:165], v[146:147]
	v_fma_f64 v[150:151], v[197:198], s[6:7], v[201:202]
	v_add_f64_e32 v[164:165], v[26:27], v[46:47]
	v_add_f64_e32 v[201:202], v[213:214], v[209:210]
	v_fma_f64 v[209:210], v[156:157], s[6:7], v[215:216]
	v_fma_f64 v[134:135], v[156:157], s[14:15], v[134:135]
	;; [unrolled: 1-line block ×3, first 2 shown]
	v_add_f64_e64 v[197:198], v[24:25], -v[4:5]
	v_add_f64_e32 v[60:61], v[40:41], v[60:61]
	v_fma_f64 v[156:157], v[203:204], -0.5, v[46:47]
	v_add_f64_e32 v[34:35], v[38:39], v[34:35]
	v_fma_f64 v[66:67], v[84:85], s[14:15], v[66:67]
	v_fma_f64 v[40:41], v[110:111], -0.5, v[46:47]
	v_add_f64_e32 v[110:111], v[42:43], v[62:63]
	v_add_f64_e32 v[62:63], v[68:69], v[96:97]
	v_add_f64_e64 v[46:47], v[28:29], -v[12:13]
	v_fma_f64 v[42:43], v[84:85], s[6:7], v[126:127]
	v_add_f64_e32 v[68:69], v[130:131], v[112:113]
	v_fma_f64 v[96:97], v[205:206], s[14:15], v[217:218]
	v_add_f64_e64 v[38:39], v[24:25], -v[28:29]
	v_add_f64_e64 v[24:25], v[28:29], -v[24:25]
	;; [unrolled: 1-line block ×3, first 2 shown]
	v_add_f64_e32 v[84:85], v[158:159], v[148:149]
	v_fma_f64 v[112:113], v[168:169], s[14:15], v[223:224]
	v_fma_f64 v[70:71], v[219:220], s[12:13], v[70:71]
	v_mul_f64_e32 v[130:131], s[2:3], v[80:81]
	v_mul_f64_e32 v[148:149], s[6:7], v[132:133]
	v_mul_f64_e32 v[126:127], s[14:15], v[86:87]
	v_fma_f64 v[158:159], v[207:208], s[2:3], v[136:137]
	v_fma_f64 v[136:137], v[207:208], s[0:1], v[136:137]
	;; [unrolled: 1-line block ×3, first 2 shown]
	v_add_f64_e32 v[28:29], v[28:29], v[160:161]
	v_add_f64_e64 v[160:161], v[12:13], -v[4:5]
	v_add_f64_e32 v[16:17], v[16:17], v[32:33]
	v_mul_f64_e32 v[213:214], s[0:1], v[124:125]
	v_fma_f64 v[32:33], v[205:206], s[6:7], v[162:163]
	v_fma_f64 v[162:163], v[168:169], s[6:7], v[166:167]
	;; [unrolled: 1-line block ×5, first 2 shown]
	v_add_f64_e32 v[164:165], v[30:31], v[164:165]
	v_add_f64_e64 v[82:83], v[26:27], -v[30:31]
	v_fma_f64 v[166:167], v[201:202], s[12:13], v[209:210]
	v_fma_f64 v[134:135], v[201:202], s[12:13], v[134:135]
	;; [unrolled: 1-line block ×3, first 2 shown]
	v_add_f64_e64 v[217:218], v[6:7], -v[14:15]
	v_fma_f64 v[152:153], v[98:99], s[12:13], v[152:153]
	v_fma_f64 v[154:155], v[197:198], s[0:1], v[156:157]
	;; [unrolled: 1-line block ×3, first 2 shown]
	v_add_f64_e32 v[98:99], v[20:21], v[56:57]
	v_add_f64_e32 v[20:21], v[18:19], v[34:35]
	v_fma_f64 v[156:157], v[197:198], s[2:3], v[156:157]
	v_add_f64_e64 v[26:27], v[30:31], -v[26:27]
	v_fma_f64 v[30:31], v[46:47], s[2:3], v[40:41]
	v_add_f64_e64 v[168:169], v[14:15], -v[6:7]
	v_fma_f64 v[40:41], v[46:47], s[0:1], v[40:41]
	v_fma_f64 v[34:35], v[68:69], s[12:13], v[96:97]
	v_add_f64_e32 v[201:202], v[22:23], v[58:59]
	v_fma_f64 v[74:75], v[211:212], s[12:13], v[74:75]
	v_add_f64_e32 v[38:39], v[203:204], v[38:39]
	v_fma_f64 v[56:57], v[195:196], s[12:13], v[76:77]
	v_fma_f64 v[58:59], v[84:85], s[12:13], v[112:113]
	v_add_f64_e64 v[18:19], v[138:139], -v[88:89]
	v_fma_f64 v[96:97], v[124:125], s[12:13], v[130:131]
	v_fma_f64 v[112:113], v[86:87], s[18:19], v[148:149]
	v_mul_f64_e32 v[124:125], s[2:3], v[70:71]
	v_fma_f64 v[86:87], v[36:37], s[14:15], v[158:159]
	v_fma_f64 v[36:37], v[36:37], s[6:7], v[136:137]
	;; [unrolled: 1-line block ×3, first 2 shown]
	v_mul_f64_e32 v[126:127], s[14:15], v[72:73]
	v_mul_f64_e32 v[72:73], s[20:21], v[72:73]
	v_add_f64_e32 v[158:159], v[8:9], v[16:17]
	v_fma_f64 v[130:131], v[80:81], s[12:13], v[213:214]
	v_add_f64_e32 v[80:81], v[12:13], v[28:29]
	v_add_f64_e32 v[28:29], v[160:161], v[24:25]
	v_fma_f64 v[68:69], v[68:69], s[12:13], v[32:33]
	v_fma_f64 v[44:45], v[207:208], s[6:7], v[44:45]
	v_mul_f64_e32 v[136:137], s[14:15], v[150:151]
	v_add_f64_e32 v[148:149], v[14:15], v[164:165]
	v_fma_f64 v[84:85], v[84:85], s[12:13], v[162:163]
	v_mul_f64_e32 v[160:161], s[2:3], v[166:167]
	v_mul_f64_e32 v[162:163], s[2:3], v[134:135]
	;; [unrolled: 1-line block ×3, first 2 shown]
	v_fma_f64 v[132:133], v[207:208], s[14:15], v[215:216]
	v_add_f64_e32 v[82:83], v[217:218], v[82:83]
	v_fma_f64 v[154:155], v[46:47], s[6:7], v[154:155]
	v_add_f64_e32 v[14:15], v[100:101], v[64:65]
	v_add_f64_e64 v[16:17], v[100:101], -v[64:65]
	v_add_f64_e32 v[8:9], v[138:139], v[88:89]
	v_add_f64_e32 v[64:65], v[10:11], v[20:21]
	v_fma_f64 v[46:47], v[46:47], s[14:15], v[156:157]
	v_fma_f64 v[156:157], v[197:198], s[6:7], v[30:31]
	v_add_f64_e32 v[168:169], v[168:169], v[26:27]
	v_fma_f64 v[195:196], v[197:198], s[14:15], v[40:41]
	v_mul_f64_e32 v[88:89], s[6:7], v[34:35]
	v_mul_f64_e32 v[134:135], s[16:17], v[134:135]
	;; [unrolled: 1-line block ×4, first 2 shown]
	v_fma_f64 v[78:79], v[221:222], s[12:13], v[78:79]
	v_mul_f64_e32 v[100:101], s[0:1], v[58:59]
	v_add_f64_e32 v[10:11], v[120:121], v[199:200]
	v_add_f64_e64 v[32:33], v[120:121], -v[199:200]
	v_fma_f64 v[108:109], v[221:222], s[12:13], v[108:109]
	v_fma_f64 v[124:125], v[74:75], s[16:17], v[124:125]
	v_fma_f64 v[86:87], v[38:39], s[12:13], v[86:87]
	v_fma_f64 v[197:198], v[38:39], s[12:13], v[36:37]
	v_add_f64_e32 v[12:13], v[48:49], v[52:53]
	v_fma_f64 v[126:127], v[56:57], s[20:21], v[126:127]
	v_add_f64_e64 v[22:23], v[52:53], -v[48:49]
	v_add_f64_e32 v[158:159], v[0:1], v[158:159]
	v_add_f64_e32 v[20:21], v[122:123], v[104:105]
	;; [unrolled: 1-line block ×3, first 2 shown]
	v_fma_f64 v[203:204], v[62:63], s[12:13], v[42:43]
	v_add_f64_e32 v[26:27], v[102:103], v[144:145]
	v_fma_f64 v[205:206], v[28:29], s[12:13], v[44:45]
	v_fma_f64 v[136:137], v[34:35], s[18:19], v[136:137]
	v_add_f64_e64 v[34:35], v[122:123], -v[104:105]
	v_add_f64_e64 v[40:41], v[102:103], -v[144:145]
	v_fma_f64 v[120:121], v[58:59], s[12:13], v[160:161]
	v_fma_f64 v[160:161], v[84:85], s[16:17], v[162:163]
	;; [unrolled: 1-line block ×4, first 2 shown]
	v_add_f64_e32 v[28:29], v[140:141], v[114:115]
	v_fma_f64 v[102:103], v[62:63], s[12:13], v[66:67]
	v_fma_f64 v[104:105], v[56:57], s[6:7], v[72:73]
	v_add_f64_e64 v[42:43], v[140:141], -v[114:115]
	v_add_f64_e32 v[114:115], v[6:7], v[148:149]
	v_fma_f64 v[154:155], v[82:83], s[12:13], v[154:155]
	v_add_f64_e32 v[148:149], v[2:3], v[64:65]
	v_fma_f64 v[164:165], v[82:83], s[12:13], v[46:47]
	v_fma_f64 v[156:157], v[168:169], s[12:13], v[156:157]
	v_add_f64_e32 v[24:25], v[50:51], v[54:55]
	v_fma_f64 v[88:89], v[150:151], s[18:19], v[88:89]
	v_fma_f64 v[134:135], v[84:85], s[0:1], v[134:135]
	;; [unrolled: 1-line block ×3, first 2 shown]
	v_add_f64_e64 v[38:39], v[54:55], -v[50:51]
	v_add_f64_e32 v[0:1], v[98:99], v[60:61]
	v_fma_f64 v[100:101], v[166:167], s[12:13], v[100:101]
	v_fma_f64 v[166:167], v[168:169], s[12:13], v[195:196]
	;; [unrolled: 1-line block ×3, first 2 shown]
	v_add_f64_e32 v[2:3], v[78:79], v[76:77]
	v_add_f64_e64 v[50:51], v[60:61], -v[98:99]
	v_add_f64_e64 v[60:61], v[78:79], -v[76:77]
	v_add_f64_e32 v[30:31], v[116:117], v[90:91]
	v_add_f64_e32 v[4:5], v[142:143], v[96:97]
	;; [unrolled: 1-line block ×5, first 2 shown]
	v_add_f64_e64 v[62:63], v[142:143], -v[96:97]
	v_add_f64_e32 v[68:69], v[158:159], v[80:81]
	v_add_f64_e64 v[78:79], v[80:81], -v[158:159]
	v_add_f64_e64 v[64:65], v[92:93], -v[124:125]
	;; [unrolled: 1-line block ×3, first 2 shown]
	v_add_f64_e32 v[70:71], v[86:87], v[136:137]
	v_add_f64_e64 v[80:81], v[86:87], -v[136:137]
	v_add_f64_e64 v[44:45], v[116:117], -v[90:91]
	v_mul_u32_u24_e32 v90, 10, v175
	v_add_f64_e64 v[84:85], v[205:206], -v[160:161]
	v_add_f64_e64 v[86:87], v[197:198], -v[162:163]
	v_add_f64_e32 v[72:73], v[132:133], v[120:121]
	v_add_f64_e32 v[74:75], v[205:206], v[160:161]
	;; [unrolled: 1-line block ×3, first 2 shown]
	v_add_f64_e64 v[82:83], v[132:133], -v[120:121]
	v_lshl_add_u32 v127, v90, 3, 0
	ds_store_b128 v127, v[12:15]
	ds_store_b128 v127, v[8:11] offset:16
	ds_store_b128 v127, v[20:23] offset:32
	;; [unrolled: 1-line block ×4, first 2 shown]
	v_and_b32_e32 v32, 0xff, v175
	v_add_f64_e64 v[46:47], v[118:119], -v[106:107]
	v_add_f64_e32 v[118:119], v[102:103], v[104:105]
	v_add_f64_e64 v[120:121], v[110:111], -v[201:202]
	v_add_f64_e32 v[136:137], v[148:149], v[114:115]
	v_add_f64_e32 v[138:139], v[154:155], v[88:89]
	;; [unrolled: 1-line block ×4, first 2 shown]
	v_add_f64_e64 v[123:124], v[203:204], -v[112:113]
	v_add_f64_e64 v[125:126], v[152:153], -v[130:131]
	v_add_f64_e32 v[141:142], v[156:157], v[100:101]
	v_add_f64_e32 v[143:144], v[166:167], v[134:135]
	v_add_f64_e32 v[56:57], v[152:153], v[130:131]
	v_add_f64_e32 v[58:59], v[94:95], v[146:147]
	v_add_f64_e64 v[130:131], v[94:95], -v[146:147]
	v_add_f64_e64 v[132:133], v[102:103], -v[104:105]
	v_add_f64_e32 v[145:146], v[164:165], v[168:169]
	v_add_f64_e64 v[147:148], v[114:115], -v[148:149]
	v_add_f64_e64 v[149:150], v[154:155], -v[88:89]
	;; [unrolled: 1-line block ×3, first 2 shown]
	v_mul_lo_u16 v32, 0xcd, v32
	v_add_f64_e64 v[153:154], v[166:167], -v[134:135]
	v_add_f64_e64 v[155:156], v[164:165], -v[168:169]
	v_mul_i32_i24_e32 v88, 10, v171
	v_mul_i32_i24_e32 v8, 10, v170
	v_mad_i32_i24 v196, 0xffffffb8, v175, v127
	v_lshrrev_b16 v202, 11, v32
	v_lshl_add_u32 v197, v172, 3, 0
	v_lshl_add_u32 v195, v88, 3, 0
	;; [unrolled: 1-line block ×3, first 2 shown]
	v_add_nc_u32_e32 v116, 0x1400, v196
	v_add_nc_u32_e32 v112, 0x1c00, v196
	;; [unrolled: 1-line block ×8, first 2 shown]
	v_mul_lo_u16 v33, v202, 10
	v_add_nc_u32_e32 v115, 0x2c00, v196
	v_add_nc_u32_e32 v135, 0x4800, v196
	;; [unrolled: 1-line block ×4, first 2 shown]
	v_mad_i32_i24 v200, 0xffffffb8, v171, v195
	v_add_nc_u32_e32 v209, 0x6800, v196
	v_mad_i32_i24 v201, 0xffffffb8, v170, v198
	ds_store_b128 v195, v[0:3]
	ds_store_b128 v195, v[4:7] offset:16
	ds_store_b128 v195, v[48:51] offset:32
	;; [unrolled: 1-line block ×4, first 2 shown]
	ds_store_b128 v198, v[68:71]
	ds_store_b128 v198, v[72:75] offset:16
	ds_store_b128 v198, v[76:79] offset:32
	;; [unrolled: 1-line block ×4, first 2 shown]
	global_wb scope:SCOPE_SE
	s_wait_dscnt 0x0
	s_barrier_signal -1
	s_barrier_wait -1
	global_inv scope:SCOPE_SE
	ds_load_2addr_b64 v[100:103], v116 offset0:80 offset1:200
	ds_load_2addr_b64 v[88:91], v112 offset0:64 offset1:184
	;; [unrolled: 1-line block ×13, first 2 shown]
	ds_load_b64 v[108:109], v196
	ds_load_b64 v[110:111], v197
	;; [unrolled: 1-line block ×4, first 2 shown]
	global_wb scope:SCOPE_SE
	s_wait_dscnt 0x0
	s_barrier_signal -1
	s_barrier_wait -1
	global_inv scope:SCOPE_SE
	ds_store_b128 v127, v[24:27]
	ds_store_b128 v127, v[28:31] offset:16
	ds_store_b128 v127, v[36:39] offset:32
	ds_store_b128 v127, v[40:43] offset:48
	v_sub_nc_u16 v24, v175, v33
	v_and_b32_e32 v206, 0xff, v171
	ds_store_b128 v127, v[44:47] offset:64
	ds_store_b128 v195, v[52:55]
	ds_store_b128 v195, v[56:59] offset:16
	ds_store_b128 v195, v[118:121] offset:32
	;; [unrolled: 1-line block ×4, first 2 shown]
	ds_store_b128 v198, v[136:139]
	ds_store_b128 v198, v[141:144] offset:16
	ds_store_b128 v198, v[145:148] offset:32
	;; [unrolled: 1-line block ×4, first 2 shown]
	v_and_b32_e32 v204, 0xff, v24
	v_mul_lo_u16 v32, 0xcd, v206
	global_wb scope:SCOPE_SE
	s_wait_dscnt 0x0
	s_barrier_signal -1
	s_barrier_wait -1
	v_mul_u32_u24_e32 v25, 9, v204
	v_lshrrev_b16 v203, 11, v32
	global_inv scope:SCOPE_SE
	v_lshlrev_b32_e32 v36, 4, v25
	v_mul_lo_u16 v24, v203, 10
	global_load_b128 v[118:121], v36, s[4:5] offset:16
	v_sub_nc_u16 v24, v171, v24
	s_delay_alu instid0(VALU_DEP_1) | instskip(NEXT) | instid1(VALU_DEP_1)
	v_and_b32_e32 v205, 0xff, v24
	v_mul_u32_u24_e32 v24, 9, v205
	s_delay_alu instid0(VALU_DEP_1)
	v_lshlrev_b32_e32 v68, 4, v24
	s_clause 0x7
	global_load_b128 v[123:126], v68, s[4:5] offset:16
	global_load_b128 v[130:133], v36, s[4:5] offset:48
	;; [unrolled: 1-line block ×6, first 2 shown]
	global_load_b128 v[166:169], v68, s[4:5]
	global_load_b128 v[162:165], v68, s[4:5] offset:112
	v_and_b32_e32 v24, 0xffff, v170
	s_delay_alu instid0(VALU_DEP_1) | instskip(NEXT) | instid1(VALU_DEP_1)
	v_mul_u32_u24_e32 v24, 0xcccd, v24
	v_lshrrev_b32_e32 v207, 19, v24
	s_delay_alu instid0(VALU_DEP_1) | instskip(NEXT) | instid1(VALU_DEP_1)
	v_mul_lo_u16 v24, v207, 10
	v_sub_nc_u16 v24, v170, v24
	s_delay_alu instid0(VALU_DEP_1) | instskip(NEXT) | instid1(VALU_DEP_1)
	v_and_b32_e32 v208, 0xffff, v24
	v_mul_u32_u24_e32 v24, 9, v208
	s_delay_alu instid0(VALU_DEP_1)
	v_lshlrev_b32_e32 v72, 4, v24
	s_clause 0x11
	global_load_b128 v[211:214], v72, s[4:5]
	global_load_b128 v[215:218], v36, s[4:5] offset:32
	global_load_b128 v[219:222], v72, s[4:5] offset:16
	;; [unrolled: 1-line block ×8, first 2 shown]
	global_load_b128 v[60:63], v36, s[4:5]
	global_load_b128 v[52:55], v68, s[4:5] offset:64
	global_load_b128 v[48:51], v72, s[4:5] offset:64
	;; [unrolled: 1-line block ×8, first 2 shown]
	ds_load_2addr_b64 v[146:149], v116 offset0:80 offset1:200
	ds_load_2addr_b64 v[231:234], v115 offset0:32 offset1:152
	ds_load_2addr_b64 v[235:238], v112 offset0:64 offset1:184
	ds_load_2addr_b64 v[239:242], v113 offset0:48 offset1:168
	s_wait_loadcnt_dscnt 0x1a03
	v_mul_f64_e32 v[136:137], v[146:147], v[120:121]
	v_mul_f64_e32 v[120:121], v[100:101], v[120:121]
	s_wait_loadcnt 0x19
	v_mul_f64_e32 v[138:139], v[148:149], v[125:126]
	v_mul_f64_e32 v[125:126], v[102:103], v[125:126]
	s_wait_loadcnt_dscnt 0x1802
	v_mul_f64_e32 v[115:116], v[231:232], v[132:133]
	v_fma_f64 v[136:137], v[100:101], v[118:119], v[136:137]
	v_fma_f64 v[146:147], v[146:147], v[118:119], -v[120:121]
	s_wait_loadcnt 0x17
	v_mul_f64_e32 v[120:121], v[233:234], v[143:144]
	v_fma_f64 v[118:119], v[102:103], v[123:124], v[138:139]
	v_mul_f64_e32 v[102:103], v[96:97], v[132:133]
	v_fma_f64 v[100:101], v[148:149], v[123:124], -v[125:126]
	ds_load_2addr_b64 v[123:126], v117 offset0:112 offset1:232
	v_mul_f64_e32 v[132:133], v[98:99], v[143:144]
	v_fma_f64 v[144:145], v[96:97], v[130:131], v[115:116]
	s_wait_loadcnt 0x15
	v_mul_f64_e32 v[116:117], v[86:87], v[156:157]
	v_fma_f64 v[120:121], v[98:99], v[141:142], v[120:121]
	ds_load_2addr_b64 v[96:99], v114 offset0:64 offset1:184
	s_wait_dscnt 0x1
	v_mul_f64_e32 v[138:139], v[123:124], v[152:153]
	v_mul_f64_e32 v[152:153], v[84:85], v[152:153]
	v_fma_f64 v[148:149], v[231:232], v[130:131], -v[102:103]
	v_mul_f64_e32 v[102:103], v[125:126], v[156:157]
	s_wait_loadcnt 0x14
	v_mul_f64_e32 v[156:157], v[80:81], v[160:161]
	v_fma_f64 v[114:115], v[233:234], v[141:142], -v[132:133]
	ds_load_2addr_b64 v[231:234], v122 offset0:96 offset1:216
	s_wait_dscnt 0x1
	v_mul_f64_e32 v[130:131], v[96:97], v[160:161]
	s_wait_loadcnt 0x12
	v_mul_f64_e32 v[160:161], v[98:99], v[164:165]
	v_fma_f64 v[116:117], v[125:126], v[154:155], -v[116:117]
	v_fma_f64 v[142:143], v[84:85], v[150:151], v[138:139]
	v_fma_f64 v[138:139], v[123:124], v[150:151], -v[152:153]
	v_mul_f64_e32 v[84:85], v[82:83], v[164:165]
	s_wait_dscnt 0x0
	v_mul_f64_e32 v[150:151], v[231:232], v[168:169]
	s_wait_loadcnt 0x11
	v_mul_f64_e32 v[152:153], v[233:234], v[213:214]
	s_wait_loadcnt 0x10
	v_mul_f64_e32 v[164:165], v[237:238], v[217:218]
	v_fma_f64 v[122:123], v[86:87], v[154:155], v[102:103]
	v_mul_f64_e32 v[86:87], v[76:77], v[168:169]
	v_mul_f64_e32 v[154:155], v[78:79], v[213:214]
	;; [unrolled: 1-line block ×3, first 2 shown]
	v_fma_f64 v[132:133], v[80:81], v[158:159], v[130:131]
	v_fma_f64 v[102:103], v[82:83], v[162:163], v[160:161]
	s_wait_loadcnt 0xf
	v_mul_f64_e32 v[160:161], v[235:236], v[221:222]
	ds_load_2addr_b64 v[80:83], v140 offset0:16 offset1:136
	v_mul_f64_e32 v[213:214], v[88:89], v[221:222]
	s_wait_loadcnt 0xe
	v_mul_f64_e32 v[217:218], v[239:240], v[225:226]
	v_mul_f64_e32 v[221:222], v[92:93], v[225:226]
	s_wait_loadcnt 0xd
	v_mul_f64_e32 v[225:226], v[241:242], v[229:230]
	v_fma_f64 v[130:131], v[96:97], v[158:159], -v[156:157]
	s_wait_loadcnt 0xc
	v_mul_f64_e32 v[158:159], v[10:11], v[26:27]
	v_mul_f64_e32 v[229:230], v[94:95], v[229:230]
	v_fma_f64 v[112:113], v[98:99], v[162:163], -v[84:85]
	v_fma_f64 v[126:127], v[76:77], v[166:167], v[150:151]
	v_fma_f64 v[98:99], v[78:79], v[211:212], v[152:153]
	ds_load_2addr_b64 v[76:79], v135 offset0:96 offset1:216
	s_wait_dscnt 0x1
	v_mul_f64_e32 v[156:157], v[82:83], v[26:27]
	v_fma_f64 v[152:153], v[90:91], v[215:216], v[164:165]
	s_wait_loadcnt 0xb
	v_mul_f64_e32 v[162:163], v[8:9], v[30:31]
	s_wait_loadcnt 0xa
	v_mul_f64_e32 v[164:165], v[6:7], v[34:35]
	v_fma_f64 v[124:125], v[231:232], v[166:167], -v[86:87]
	v_fma_f64 v[96:97], v[233:234], v[211:212], -v[154:155]
	ds_load_2addr_b64 v[84:87], v134 offset0:48 offset1:168
	ds_load_b64 v[154:155], v197
	v_mul_f64_e32 v[166:167], v[80:81], v[30:31]
	v_fma_f64 v[30:31], v[88:89], v[219:220], v[160:161]
	ds_load_2addr_b64 v[88:91], v199 offset0:128 offset1:248
	v_fma_f64 v[26:27], v[235:236], v[219:220], -v[213:214]
	v_fma_f64 v[140:141], v[92:93], v[223:224], v[217:218]
	s_wait_dscnt 0x3
	v_mul_f64_e32 v[160:161], v[78:79], v[34:35]
	v_fma_f64 v[134:135], v[239:240], v[223:224], -v[221:222]
	v_fma_f64 v[92:93], v[94:95], v[227:228], v[225:226]
	s_wait_loadcnt 0x9
	v_mul_f64_e32 v[94:95], v[2:3], v[58:59]
	v_fma_f64 v[150:151], v[237:238], v[215:216], -v[168:169]
	ds_load_b64 v[168:169], v200
	ds_load_b64 v[214:215], v201
	;; [unrolled: 1-line block ×3, first 2 shown]
	ds_load_2addr_b64 v[210:213], v210 offset0:80 offset1:200
	v_fma_f64 v[34:35], v[241:242], v[227:228], -v[229:230]
	v_add_f64_e32 v[232:233], v[114:115], v[116:117]
	v_add_f64_e64 v[222:223], v[118:119], -v[120:121]
	v_add_f64_e64 v[226:227], v[120:121], -v[118:119]
	;; [unrolled: 1-line block ×4, first 2 shown]
	s_wait_dscnt 0x6
	v_mul_f64_e32 v[58:59], v[86:87], v[58:59]
	s_wait_loadcnt_dscnt 0x805
	v_mul_f64_e32 v[218:219], v[154:155], v[62:63]
	v_mul_f64_e32 v[62:63], v[110:111], v[62:63]
	s_wait_loadcnt_dscnt 0x704
	v_mul_f64_e32 v[220:221], v[88:89], v[54:55]
	v_mul_f64_e32 v[54:55], v[20:21], v[54:55]
	v_fma_f64 v[156:157], v[10:11], v[24:25], v[156:157]
	v_fma_f64 v[24:25], v[82:83], v[24:25], -v[158:159]
	s_wait_loadcnt 0x6
	v_mul_f64_e32 v[158:159], v[90:91], v[50:51]
	v_mul_f64_e32 v[50:51], v[22:23], v[50:51]
	v_fma_f64 v[82:83], v[8:9], v[28:29], v[166:167]
	ds_load_2addr_b64 v[8:11], v209 offset0:32 offset1:152
	v_fma_f64 v[28:29], v[80:81], v[28:29], -v[162:163]
	s_wait_loadcnt 0x5
	v_mul_f64_e32 v[80:81], v[76:77], v[46:47]
	v_mul_f64_e32 v[46:47], v[4:5], v[46:47]
	v_fma_f64 v[6:7], v[6:7], v[32:33], v[160:161]
	v_fma_f64 v[32:33], v[78:79], v[32:33], -v[164:165]
	s_wait_loadcnt_dscnt 0x401
	v_mul_f64_e32 v[78:79], v[210:211], v[42:43]
	v_mul_f64_e32 v[42:43], v[16:17], v[42:43]
	s_wait_loadcnt 0x3
	v_mul_f64_e32 v[160:161], v[212:213], v[38:39]
	v_fma_f64 v[86:87], v[86:87], v[56:57], -v[94:95]
	v_mul_f64_e32 v[38:39], v[18:19], v[38:39]
	global_wb scope:SCOPE_SE
	s_wait_loadcnt_dscnt 0x0
	s_barrier_signal -1
	s_barrier_wait -1
	global_inv scope:SCOPE_SE
	v_fma_f64 v[2:3], v[2:3], v[56:57], v[58:59]
	v_mul_f64_e32 v[56:57], v[84:85], v[66:67]
	v_mul_f64_e32 v[58:59], v[0:1], v[66:67]
	v_fma_f64 v[66:67], v[110:111], v[60:61], v[218:219]
	v_fma_f64 v[60:61], v[154:155], v[60:61], -v[62:63]
	v_mul_f64_e32 v[62:63], v[8:9], v[70:71]
	v_mul_f64_e32 v[70:71], v[12:13], v[70:71]
	;; [unrolled: 1-line block ×4, first 2 shown]
	v_fma_f64 v[20:21], v[20:21], v[52:53], v[220:221]
	v_fma_f64 v[52:53], v[88:89], v[52:53], -v[54:55]
	v_add_f64_e32 v[54:55], v[108:109], v[136:137]
	v_add_f64_e32 v[88:89], v[144:145], v[142:143]
	;; [unrolled: 1-line block ×3, first 2 shown]
	v_fma_f64 v[22:23], v[22:23], v[48:49], v[158:159]
	v_fma_f64 v[48:49], v[90:91], v[48:49], -v[50:51]
	v_add_f64_e64 v[90:91], v[146:147], -v[130:131]
	v_add_f64_e32 v[158:159], v[118:119], v[102:103]
	v_add_f64_e64 v[154:155], v[148:149], -v[138:139]
	v_add_f64_e32 v[220:221], v[106:107], v[118:119]
	v_add_f64_e64 v[118:119], v[118:119], -v[102:103]
	v_fma_f64 v[4:5], v[4:5], v[44:45], v[80:81]
	v_fma_f64 v[44:45], v[76:77], v[44:45], -v[46:47]
	v_add_f64_e32 v[46:47], v[216:217], v[146:147]
	v_add_f64_e32 v[50:51], v[156:157], v[6:7]
	;; [unrolled: 1-line block ×3, first 2 shown]
	v_fma_f64 v[16:17], v[16:17], v[40:41], v[78:79]
	v_fma_f64 v[40:41], v[210:211], v[40:41], -v[42:43]
	v_add_f64_e32 v[78:79], v[150:151], v[86:87]
	v_fma_f64 v[18:19], v[18:19], v[36:37], v[160:161]
	v_fma_f64 v[36:37], v[212:213], v[36:37], -v[38:39]
	v_add_f64_e64 v[80:81], v[130:131], -v[138:139]
	v_add_f64_e64 v[160:161], v[152:153], -v[156:157]
	;; [unrolled: 1-line block ×5, first 2 shown]
	v_add_f64_e32 v[38:39], v[152:153], v[2:3]
	v_fma_f64 v[0:1], v[0:1], v[64:65], v[56:57]
	v_fma_f64 v[42:43], v[84:85], v[64:65], -v[58:59]
	v_add_f64_e64 v[56:57], v[136:137], -v[144:145]
	v_add_f64_e32 v[84:85], v[60:61], v[150:151]
	v_fma_f64 v[12:13], v[12:13], v[68:69], v[62:63]
	v_fma_f64 v[8:9], v[8:9], v[68:69], -v[70:71]
	v_fma_f64 v[14:15], v[14:15], v[72:73], v[94:95]
	v_fma_f64 v[10:11], v[10:11], v[72:73], -v[74:75]
	v_add_f64_e32 v[62:63], v[148:149], v[138:139]
	v_add_f64_e64 v[70:71], v[146:147], -v[148:149]
	v_add_f64_e32 v[72:73], v[146:147], v[130:131]
	v_add_f64_e32 v[74:75], v[66:67], v[152:153]
	;; [unrolled: 1-line block ×3, first 2 shown]
	v_fma_f64 v[88:89], v[88:89], -0.5, v[108:109]
	v_add_f64_e64 v[94:95], v[148:149], -v[146:147]
	v_add_f64_e32 v[146:147], v[120:121], v[122:123]
	v_fma_f64 v[108:109], v[110:111], -0.5, v[108:109]
	v_add_f64_e64 v[58:59], v[132:133], -v[142:143]
	v_add_f64_e64 v[64:65], v[144:145], -v[136:137]
	;; [unrolled: 1-line block ×7, first 2 shown]
	v_add_f64_e32 v[46:47], v[46:47], v[148:149]
	v_fma_f64 v[50:51], v[50:51], -0.5, v[66:67]
	v_fma_f64 v[76:77], v[76:77], -0.5, v[60:61]
	v_add_f64_e64 v[148:149], v[156:157], -v[6:7]
	v_add_f64_e64 v[218:219], v[32:33], -v[86:87]
	v_fma_f64 v[60:61], v[78:79], -0.5, v[60:61]
	v_add_f64_e64 v[78:79], v[156:157], -v[152:153]
	v_add_f64_e64 v[152:153], v[6:7], -v[2:3]
	;; [unrolled: 1-line block ×4, first 2 shown]
	v_fma_f64 v[38:39], v[38:39], -0.5, v[66:67]
	v_add_f64_e64 v[66:67], v[86:87], -v[32:33]
	v_add_f64_e32 v[24:25], v[84:85], v[24:25]
	v_add_f64_e32 v[84:85], v[168:169], v[100:101]
	v_fma_f64 v[62:63], v[62:63], -0.5, v[216:217]
	v_add_f64_e32 v[70:71], v[70:71], v[80:81]
	v_fma_f64 v[72:73], v[72:73], -0.5, v[216:217]
	v_add_f64_e32 v[74:75], v[74:75], v[156:157]
	v_add_f64_e64 v[156:157], v[100:101], -v[112:113]
	v_add_f64_e32 v[54:55], v[54:55], v[142:143]
	v_fma_f64 v[142:143], v[90:91], s[2:3], v[88:89]
	v_fma_f64 v[88:89], v[90:91], s[0:1], v[88:89]
	v_fma_f64 v[146:147], v[146:147], -0.5, v[106:107]
	v_add_f64_e64 v[216:217], v[114:115], -v[116:117]
	v_fma_f64 v[106:107], v[158:159], -0.5, v[106:107]
	v_fma_f64 v[230:231], v[154:155], s[0:1], v[108:109]
	v_add_f64_e32 v[158:159], v[100:101], v[112:113]
	v_add_f64_e32 v[56:57], v[56:57], v[58:59]
	;; [unrolled: 1-line block ×3, first 2 shown]
	v_fma_f64 v[64:65], v[154:155], s[2:3], v[108:109]
	v_add_f64_e32 v[46:47], v[46:47], v[138:139]
	v_add_f64_e32 v[80:81], v[20:21], v[16:17]
	v_fma_f64 v[108:109], v[166:167], s[0:1], v[76:77]
	v_fma_f64 v[76:77], v[166:167], s[2:3], v[76:77]
	v_add_f64_e32 v[94:95], v[94:95], v[110:111]
	v_fma_f64 v[138:139], v[148:149], s[2:3], v[60:61]
	v_fma_f64 v[60:61], v[148:149], s[0:1], v[60:61]
	v_add_f64_e32 v[160:161], v[160:161], v[162:163]
	v_add_f64_e32 v[162:163], v[134:135], v[8:9]
	;; [unrolled: 1-line block ×6, first 2 shown]
	v_fma_f64 v[110:111], v[211:212], s[0:1], v[38:39]
	v_fma_f64 v[38:39], v[211:212], s[2:3], v[38:39]
	v_add_f64_e32 v[66:67], v[209:210], v[66:67]
	v_fma_f64 v[68:69], v[164:165], s[2:3], v[50:51]
	v_add_f64_e32 v[24:25], v[24:25], v[32:33]
	v_add_f64_e32 v[84:85], v[84:85], v[114:115]
	v_fma_f64 v[50:51], v[164:165], s[0:1], v[50:51]
	v_add_f64_e64 v[120:121], v[120:121], -v[122:123]
	v_fma_f64 v[209:210], v[136:137], s[0:1], v[62:63]
	v_fma_f64 v[62:63], v[136:137], s[2:3], v[62:63]
	;; [unrolled: 1-line block ×3, first 2 shown]
	v_add_f64_e32 v[6:7], v[74:75], v[6:7]
	v_add_f64_e32 v[74:75], v[52:53], v[40:41]
	v_fma_f64 v[32:33], v[144:145], s[0:1], v[72:73]
	v_add_f64_e32 v[54:55], v[54:55], v[132:133]
	v_fma_f64 v[72:73], v[154:155], s[14:15], v[142:143]
	v_fma_f64 v[88:89], v[154:155], s[6:7], v[88:89]
	;; [unrolled: 1-line block ×7, first 2 shown]
	v_fma_f64 v[230:231], v[232:233], -0.5, v[168:169]
	v_fma_f64 v[64:65], v[90:91], s[6:7], v[64:65]
	v_add_f64_e32 v[46:47], v[46:47], v[130:131]
	v_fma_f64 v[130:131], v[158:159], -0.5, v[168:169]
	v_fma_f64 v[90:91], v[148:149], s[6:7], v[108:109]
	v_fma_f64 v[76:77], v[148:149], s[14:15], v[76:77]
	v_fma_f64 v[80:81], v[80:81], -0.5, v[126:127]
	v_fma_f64 v[108:109], v[166:167], s[6:7], v[138:139]
	v_add_f64_e32 v[138:139], v[126:127], v[140:141]
	v_fma_f64 v[60:61], v[166:167], s[14:15], v[60:61]
	v_add_f64_e64 v[148:149], v[134:135], -v[8:9]
	v_add_f64_e64 v[166:167], v[20:21], -v[16:17]
	v_add_f64_e32 v[122:123], v[152:153], v[122:123]
	v_fma_f64 v[162:163], v[162:163], -0.5, v[124:125]
	v_fma_f64 v[126:127], v[220:221], -0.5, v[126:127]
	v_fma_f64 v[110:111], v[164:165], s[14:15], v[110:111]
	v_fma_f64 v[38:39], v[164:165], s[6:7], v[38:39]
	v_add_f64_e64 v[168:169], v[52:53], -v[40:41]
	v_add_f64_e32 v[220:221], v[34:35], v[10:11]
	v_fma_f64 v[68:69], v[211:212], s[14:15], v[68:69]
	v_add_f64_e32 v[84:85], v[84:85], v[116:117]
	v_fma_f64 v[50:51], v[211:212], s[6:7], v[50:51]
	v_add_f64_e32 v[158:159], v[222:223], v[224:225]
	v_add_f64_e32 v[164:165], v[226:227], v[228:229]
	v_fma_f64 v[152:153], v[144:145], s[6:7], v[209:210]
	v_fma_f64 v[62:63], v[144:145], s[14:15], v[62:63]
	;; [unrolled: 1-line block ×3, first 2 shown]
	v_add_f64_e32 v[2:3], v[6:7], v[2:3]
	v_fma_f64 v[74:75], v[74:75], -0.5, v[124:125]
	v_add_f64_e32 v[124:125], v[124:125], v[134:135]
	v_fma_f64 v[32:33], v[136:137], s[14:15], v[32:33]
	v_add_f64_e64 v[136:137], v[100:101], -v[114:115]
	v_add_f64_e64 v[100:101], v[114:115], -v[100:101]
	v_fma_f64 v[6:7], v[216:217], s[14:15], v[132:133]
	v_fma_f64 v[132:133], v[216:217], s[6:7], v[142:143]
	;; [unrolled: 1-line block ×3, first 2 shown]
	v_add_f64_e64 v[154:155], v[112:113], -v[116:117]
	v_add_f64_e64 v[114:115], v[116:117], -v[112:113]
	v_add_f64_e32 v[116:117], v[48:49], v[36:37]
	v_fma_f64 v[106:107], v[156:157], s[6:7], v[106:107]
	v_fma_f64 v[156:157], v[118:119], s[0:1], v[230:231]
	v_add_f64_e64 v[209:210], v[140:141], -v[12:13]
	v_fma_f64 v[211:212], v[118:119], s[2:3], v[230:231]
	v_fma_f64 v[90:91], v[66:67], s[12:13], v[90:91]
	;; [unrolled: 1-line block ×6, first 2 shown]
	v_add_f64_e32 v[138:139], v[138:139], v[20:21]
	v_add_f64_e64 v[216:217], v[140:141], -v[20:21]
	v_add_f64_e64 v[218:219], v[12:13], -v[16:17]
	v_fma_f64 v[60:61], v[150:151], s[12:13], v[60:61]
	v_fma_f64 v[150:151], v[148:149], s[2:3], v[80:81]
	;; [unrolled: 1-line block ×3, first 2 shown]
	v_add_f64_e64 v[222:223], v[52:53], -v[134:135]
	v_add_f64_e64 v[224:225], v[40:41], -v[8:9]
	v_fma_f64 v[226:227], v[166:167], s[2:3], v[162:163]
	v_fma_f64 v[162:163], v[166:167], s[0:1], v[162:163]
	v_add_f64_e64 v[134:135], v[134:135], -v[52:53]
	v_fma_f64 v[110:111], v[78:79], s[12:13], v[110:111]
	v_fma_f64 v[38:39], v[78:79], s[12:13], v[38:39]
	v_add_f64_e32 v[24:25], v[24:25], v[86:87]
	v_add_f64_e32 v[78:79], v[122:123], v[102:103]
	;; [unrolled: 1-line block ×3, first 2 shown]
	v_add_f64_e64 v[228:229], v[8:9], -v[40:41]
	v_fma_f64 v[230:231], v[168:169], s[0:1], v[126:127]
	v_add_f64_e32 v[84:85], v[84:85], v[112:113]
	v_add_f64_e32 v[52:53], v[124:125], v[52:53]
	;; [unrolled: 1-line block ×3, first 2 shown]
	v_add_f64_e64 v[20:21], v[20:21], -v[140:141]
	v_add_f64_e64 v[140:141], v[16:17], -v[12:13]
	v_fma_f64 v[126:127], v[168:169], s[2:3], v[126:127]
	v_add_f64_e32 v[124:125], v[82:83], v[4:5]
	v_fma_f64 v[68:69], v[160:161], s[12:13], v[68:69]
	v_add_f64_e32 v[102:103], v[136:137], v[154:155]
	v_add_f64_e64 v[136:137], v[92:93], -v[14:15]
	v_fma_f64 v[116:117], v[116:117], -0.5, v[96:97]
	v_add_f64_e64 v[154:155], v[22:23], -v[18:19]
	v_fma_f64 v[122:123], v[120:121], s[6:7], v[156:157]
	v_fma_f64 v[156:157], v[220:221], -0.5, v[96:97]
	v_fma_f64 v[232:233], v[209:210], s[0:1], v[74:75]
	v_fma_f64 v[74:75], v[209:210], s[2:3], v[74:75]
	;; [unrolled: 1-line block ×4, first 2 shown]
	v_add_f64_e32 v[100:101], v[100:101], v[114:115]
	v_fma_f64 v[114:115], v[118:119], s[14:15], v[130:131]
	v_add_f64_e32 v[16:17], v[138:139], v[16:17]
	v_mul_f64_e32 v[138:139], s[2:3], v[76:77]
	v_add_f64_e32 v[130:131], v[216:217], v[218:219]
	v_mul_f64_e32 v[160:161], s[2:3], v[60:61]
	v_fma_f64 v[150:151], v[168:169], s[14:15], v[150:151]
	v_fma_f64 v[80:81], v[168:169], s[6:7], v[80:81]
	v_add_f64_e64 v[216:217], v[34:35], -v[10:11]
	v_add_f64_e32 v[168:169], v[222:223], v[224:225]
	v_fma_f64 v[211:212], v[209:210], s[6:7], v[226:227]
	v_fma_f64 v[162:163], v[209:210], s[14:15], v[162:163]
	v_add_f64_e64 v[220:221], v[34:35], -v[48:49]
	v_add_f64_e64 v[222:223], v[10:11], -v[36:37]
	v_fma_f64 v[108:109], v[118:119], s[6:7], v[108:109]
	v_mul_f64_e32 v[118:119], s[14:15], v[90:91]
	v_fma_f64 v[72:73], v[56:57], s[12:13], v[72:73]
	v_fma_f64 v[86:87], v[86:87], -0.5, v[98:99]
	v_add_f64_e32 v[134:135], v[134:135], v[228:229]
	v_fma_f64 v[209:210], v[148:149], s[14:15], v[230:231]
	v_add_f64_e64 v[218:219], v[48:49], -v[36:37]
	v_add_f64_e32 v[40:41], v[52:53], v[40:41]
	v_add_f64_e32 v[52:53], v[30:31], v[0:1]
	v_fma_f64 v[112:113], v[112:113], -0.5, v[98:99]
	v_add_f64_e32 v[226:227], v[28:29], v[44:45]
	v_add_f64_e64 v[228:229], v[48:49], -v[34:35]
	v_add_f64_e64 v[230:231], v[36:37], -v[10:11]
	v_fma_f64 v[56:57], v[56:57], s[12:13], v[88:89]
	v_add_f64_e32 v[20:21], v[20:21], v[140:141]
	v_mul_f64_e32 v[140:141], s[14:15], v[66:67]
	v_fma_f64 v[224:225], v[136:137], s[0:1], v[116:117]
	v_fma_f64 v[116:117], v[136:137], s[2:3], v[116:117]
	v_mul_f64_e32 v[90:91], s[18:19], v[90:91]
	v_fma_f64 v[88:89], v[154:155], s[2:3], v[156:157]
	v_fma_f64 v[156:157], v[154:155], s[0:1], v[156:157]
	;; [unrolled: 1-line block ×6, first 2 shown]
	v_add_f64_e32 v[94:95], v[26:27], v[42:43]
	v_fma_f64 v[126:127], v[148:149], s[6:7], v[126:127]
	v_fma_f64 v[148:149], v[166:167], s[6:7], v[232:233]
	;; [unrolled: 1-line block ×3, first 2 shown]
	v_add_f64_e64 v[166:167], v[26:27], -v[42:43]
	v_fma_f64 v[124:125], v[124:125], -0.5, v[104:105]
	v_fma_f64 v[146:147], v[58:59], s[12:13], v[146:147]
	v_mul_f64_e32 v[76:77], s[12:13], v[76:77]
	v_mul_f64_e32 v[66:67], s[20:21], v[66:67]
	v_fma_f64 v[138:139], v[110:111], s[12:13], v[138:139]
	v_fma_f64 v[58:59], v[58:59], s[12:13], v[64:65]
	;; [unrolled: 1-line block ×7, first 2 shown]
	v_add_f64_e64 v[164:165], v[92:93], -v[22:23]
	v_add_f64_e64 v[168:169], v[14:15], -v[18:19]
	v_fma_f64 v[211:212], v[216:217], s[2:3], v[86:87]
	v_add_f64_e32 v[98:99], v[98:99], v[92:93]
	v_add_f64_e32 v[220:221], v[220:221], v[222:223]
	v_fma_f64 v[52:53], v[52:53], -0.5, v[104:105]
	v_add_f64_e32 v[104:105], v[104:105], v[30:31]
	v_mul_f64_e32 v[60:61], s[16:17], v[60:61]
	v_fma_f64 v[118:119], v[68:69], s[18:19], v[118:119]
	v_add_f64_e32 v[144:145], v[54:55], v[2:3]
	v_add_f64_e64 v[2:3], v[54:55], -v[2:3]
	v_add_f64_e64 v[54:55], v[28:29], -v[44:45]
	v_fma_f64 v[86:87], v[216:217], s[0:1], v[86:87]
	v_fma_f64 v[222:223], v[154:155], s[6:7], v[224:225]
	;; [unrolled: 1-line block ×4, first 2 shown]
	v_fma_f64 v[154:155], v[226:227], -0.5, v[214:215]
	v_add_f64_e64 v[224:225], v[30:31], -v[0:1]
	v_add_f64_e64 v[92:93], v[22:23], -v[92:93]
	v_add_f64_e32 v[228:229], v[228:229], v[230:231]
	v_add_f64_e64 v[230:231], v[18:19], -v[14:15]
	v_fma_f64 v[112:113], v[218:219], s[2:3], v[112:113]
	v_fma_f64 v[88:89], v[136:137], s[6:7], v[88:89]
	v_fma_f64 v[136:137], v[136:137], s[14:15], v[156:157]
	v_add_f64_e32 v[226:227], v[214:215], v[26:27]
	v_add_f64_e32 v[34:35], v[96:97], v[34:35]
	v_fma_f64 v[140:141], v[50:51], s[20:21], v[140:141]
	v_fma_f64 v[68:69], v[68:69], s[6:7], v[90:91]
	v_fma_f64 v[90:91], v[94:95], -0.5, v[214:215]
	v_add_f64_e64 v[94:95], v[82:83], -v[4:5]
	v_fma_f64 v[6:7], v[158:159], s[12:13], v[6:7]
	v_fma_f64 v[132:133], v[158:159], s[12:13], v[132:133]
	v_add_f64_e64 v[158:159], v[30:31], -v[82:83]
	v_fma_f64 v[156:157], v[166:167], s[2:3], v[124:125]
	v_fma_f64 v[148:149], v[134:135], s[12:13], v[148:149]
	;; [unrolled: 1-line block ×4, first 2 shown]
	v_add_f64_e64 v[102:103], v[0:1], -v[4:5]
	v_fma_f64 v[74:75], v[134:135], s[12:13], v[74:75]
	v_fma_f64 v[76:77], v[110:111], s[0:1], v[76:77]
	;; [unrolled: 1-line block ×3, first 2 shown]
	v_add_f64_e32 v[66:67], v[146:147], v[138:139]
	v_fma_f64 v[110:111], v[166:167], s[0:1], v[124:125]
	v_add_f64_e64 v[120:121], v[146:147], -v[138:139]
	v_add_f64_e32 v[134:135], v[164:165], v[168:169]
	v_add_f64_e32 v[104:105], v[104:105], v[82:83]
	v_fma_f64 v[138:139], v[218:219], s[14:15], v[211:212]
	v_add_f64_e32 v[22:23], v[98:99], v[22:23]
	v_fma_f64 v[38:39], v[38:39], s[0:1], v[60:61]
	v_add_f64_e32 v[60:61], v[72:73], v[118:119]
	v_add_f64_e64 v[72:73], v[72:73], -v[118:119]
	v_fma_f64 v[213:214], v[220:221], s[12:13], v[222:223]
	v_add_f64_e32 v[118:119], v[58:59], v[64:65]
	v_add_f64_e64 v[58:59], v[58:59], -v[64:65]
	v_fma_f64 v[64:65], v[54:55], s[0:1], v[52:53]
	v_fma_f64 v[52:53], v[54:55], s[2:3], v[52:53]
	v_add_f64_e64 v[30:31], v[82:83], -v[30:31]
	v_add_f64_e64 v[82:83], v[4:5], -v[0:1]
	;; [unrolled: 1-line block ×4, first 2 shown]
	v_fma_f64 v[168:169], v[224:225], s[0:1], v[154:155]
	v_fma_f64 v[86:87], v[218:219], s[6:7], v[86:87]
	v_add_f64_e32 v[92:93], v[92:93], v[230:231]
	v_fma_f64 v[98:99], v[216:217], s[14:15], v[232:233]
	v_fma_f64 v[112:113], v[216:217], s[6:7], v[112:113]
	;; [unrolled: 1-line block ×5, first 2 shown]
	v_add_f64_e32 v[211:212], v[226:227], v[28:29]
	v_add_f64_e32 v[34:35], v[34:35], v[48:49]
	;; [unrolled: 1-line block ×3, first 2 shown]
	v_add_f64_e64 v[48:49], v[56:57], -v[140:141]
	v_fma_f64 v[56:57], v[224:225], s[2:3], v[154:155]
	v_add_f64_e64 v[26:27], v[28:29], -v[26:27]
	v_add_f64_e64 v[28:29], v[44:45], -v[42:43]
	v_fma_f64 v[140:141], v[94:95], s[2:3], v[90:91]
	v_fma_f64 v[90:91], v[94:95], s[0:1], v[90:91]
	;; [unrolled: 1-line block ×7, first 2 shown]
	v_add_f64_e32 v[102:103], v[158:159], v[102:103]
	v_mul_f64_e32 v[130:131], s[14:15], v[148:149]
	v_mul_f64_e32 v[156:157], s[2:3], v[160:161]
	;; [unrolled: 1-line block ×5, first 2 shown]
	v_add_f64_e32 v[4:5], v[104:105], v[4:5]
	v_fma_f64 v[54:55], v[54:55], s[6:7], v[110:111]
	v_add_f64_e32 v[18:19], v[22:23], v[18:19]
	v_fma_f64 v[22:23], v[134:135], s[12:13], v[138:139]
	v_mul_f64_e32 v[110:111], s[14:15], v[213:214]
	v_fma_f64 v[64:65], v[166:167], s[14:15], v[64:65]
	v_fma_f64 v[52:53], v[166:167], s[6:7], v[52:53]
	v_add_f64_e32 v[30:31], v[30:31], v[82:83]
	v_mul_f64_e32 v[148:149], s[18:19], v[148:149]
	v_add_f64_e32 v[82:83], v[146:147], v[164:165]
	v_fma_f64 v[104:105], v[94:95], s[6:7], v[168:169]
	v_fma_f64 v[86:87], v[134:135], s[12:13], v[86:87]
	v_mul_f64_e32 v[160:161], s[12:13], v[160:161]
	v_fma_f64 v[98:99], v[92:93], s[12:13], v[98:99]
	v_fma_f64 v[92:93], v[92:93], s[12:13], v[112:113]
	v_mul_f64_e32 v[112:113], s[2:3], v[88:89]
	v_mul_f64_e32 v[134:135], s[2:3], v[136:137]
	;; [unrolled: 1-line block ×4, first 2 shown]
	v_add_f64_e32 v[44:45], v[211:212], v[44:45]
	v_add_f64_e32 v[34:35], v[34:35], v[36:37]
	v_mul_f64_e32 v[36:37], s[18:19], v[213:214]
	v_fma_f64 v[56:57], v[94:95], s[14:15], v[56:57]
	v_fma_f64 v[94:95], v[100:101], s[12:13], v[108:109]
	v_add_f64_e32 v[26:27], v[26:27], v[28:29]
	v_fma_f64 v[28:29], v[224:225], s[6:7], v[140:141]
	v_fma_f64 v[90:91], v[224:225], s[14:15], v[90:91]
	v_mul_f64_e32 v[88:89], s[12:13], v[88:89]
	v_mul_f64_e32 v[108:109], s[16:17], v[136:137]
	;; [unrolled: 1-line block ×3, first 2 shown]
	v_fma_f64 v[100:101], v[100:101], s[12:13], v[114:115]
	v_add_f64_e32 v[12:13], v[16:17], v[12:13]
	v_add_f64_e32 v[8:9], v[40:41], v[8:9]
	v_fma_f64 v[16:17], v[150:151], s[18:19], v[130:131]
	v_fma_f64 v[114:115], v[154:155], s[12:13], v[156:157]
	v_fma_f64 v[130:131], v[20:21], s[16:17], v[158:159]
	v_fma_f64 v[136:137], v[80:81], s[20:21], v[209:210]
	v_fma_f64 v[74:75], v[80:81], s[6:7], v[74:75]
	v_add_f64_e32 v[0:1], v[4:5], v[0:1]
	v_fma_f64 v[4:5], v[102:103], s[12:13], v[126:127]
	v_add_f64_e32 v[14:15], v[18:19], v[14:15]
	v_fma_f64 v[54:55], v[102:103], s[12:13], v[54:55]
	v_fma_f64 v[80:81], v[22:23], s[18:19], v[110:111]
	v_add_f64_e32 v[146:147], v[46:47], v[24:25]
	v_add_f64_e32 v[102:103], v[152:153], v[68:69]
	v_fma_f64 v[64:65], v[30:31], s[12:13], v[64:65]
	v_fma_f64 v[30:31], v[30:31], s[12:13], v[52:53]
	;; [unrolled: 1-line block ×4, first 2 shown]
	v_add_f64_e64 v[24:25], v[46:47], -v[24:25]
	v_fma_f64 v[140:141], v[154:155], s[0:1], v[160:161]
	v_add_f64_e64 v[46:47], v[152:153], -v[68:69]
	v_add_f64_e32 v[126:127], v[62:63], v[50:51]
	v_fma_f64 v[104:105], v[98:99], s[12:13], v[112:113]
	v_fma_f64 v[110:111], v[92:93], s[16:17], v[134:135]
	;; [unrolled: 1-line block ×4, first 2 shown]
	v_add_f64_e32 v[42:43], v[44:45], v[42:43]
	v_add_f64_e32 v[10:11], v[34:35], v[10:11]
	v_fma_f64 v[22:23], v[22:23], s[6:7], v[36:37]
	v_fma_f64 v[34:35], v[82:83], s[12:13], v[56:57]
	v_add_f64_e32 v[52:53], v[70:71], v[76:77]
	v_add_f64_e32 v[44:45], v[32:33], v[38:39]
	v_fma_f64 v[28:29], v[26:27], s[12:13], v[28:29]
	v_fma_f64 v[26:27], v[26:27], s[12:13], v[90:91]
	;; [unrolled: 1-line block ×5, first 2 shown]
	v_add_f64_e64 v[92:93], v[62:63], -v[50:51]
	v_add_f64_e64 v[76:77], v[70:71], -v[76:77]
	v_add_f64_e64 v[90:91], v[32:33], -v[38:39]
	v_add_f64_e32 v[32:33], v[78:79], v[12:13]
	v_add_f64_e32 v[50:51], v[142:143], v[114:115]
	;; [unrolled: 1-line block ×4, first 2 shown]
	v_add_f64_e64 v[12:13], v[78:79], -v[12:13]
	v_add_f64_e32 v[38:39], v[6:7], v[16:17]
	v_add_f64_e64 v[6:7], v[6:7], -v[16:17]
	v_add_f64_e64 v[16:17], v[142:143], -v[114:115]
	v_add_f64_e64 v[78:79], v[106:107], -v[130:131]
	v_add_f64_e64 v[82:83], v[132:133], -v[136:137]
	v_add_f64_e32 v[98:99], v[84:85], v[8:9]
	v_add_f64_e32 v[138:139], v[96:97], v[74:75]
	v_add_f64_e64 v[106:107], v[84:85], -v[8:9]
	v_add_f64_e64 v[96:97], v[96:97], -v[74:75]
	v_add_f64_e32 v[8:9], v[0:1], v[14:15]
	v_add_f64_e32 v[74:75], v[4:5], v[80:81]
	v_add_f64_e64 v[0:1], v[0:1], -v[14:15]
	v_add_f64_e64 v[4:5], v[4:5], -v[80:81]
	v_add_f64_e32 v[108:109], v[122:123], v[40:41]
	v_add_f64_e32 v[116:117], v[94:95], v[140:141]
	v_add_f64_e32 v[84:85], v[64:65], v[104:105]
	v_add_f64_e32 v[86:87], v[30:31], v[110:111]
	v_add_f64_e32 v[88:89], v[54:55], v[112:113]
	v_add_f64_e64 v[14:15], v[64:65], -v[104:105]
	v_add_f64_e64 v[30:31], v[30:31], -v[110:111]
	;; [unrolled: 1-line block ×3, first 2 shown]
	v_and_b32_e32 v64, 0xffff, v202
	v_add_f64_e64 v[40:41], v[122:123], -v[40:41]
	v_add_f64_e64 v[94:95], v[94:95], -v[140:141]
	v_add_f64_e32 v[134:135], v[100:101], v[20:21]
	v_add_f64_e64 v[20:21], v[100:101], -v[20:21]
	v_add_f64_e32 v[100:101], v[42:43], v[10:11]
	v_add_f64_e32 v[114:115], v[18:19], v[22:23]
	v_add_f64_e64 v[42:43], v[42:43], -v[10:11]
	v_add_f64_e64 v[22:23], v[18:19], -v[22:23]
	v_mul_u32_u24_e32 v10, 0x320, v64
	v_lshlrev_b32_e32 v11, 3, v204
	v_and_b32_e32 v18, 0xffff, v203
	v_add_f64_e32 v[104:105], v[28:29], v[36:37]
	v_add_f64_e32 v[110:111], v[26:27], v[56:57]
	;; [unrolled: 1-line block ×3, first 2 shown]
	v_add_f64_e64 v[28:29], v[28:29], -v[36:37]
	v_add3_u32 v122, 0, v10, v11
	v_mul_u32_u24_e32 v10, 0x320, v18
	v_lshlrev_b32_e32 v11, 3, v205
	v_add_f64_e64 v[26:27], v[26:27], -v[56:57]
	v_add_f64_e64 v[56:57], v[34:35], -v[68:69]
	ds_store_2addr_b64 v122, v[144:145], v[60:61] offset1:10
	ds_store_2addr_b64 v122, v[66:67], v[118:119] offset0:20 offset1:30
	v_add_nc_u32_e32 v157, 0x4400, v196
	v_add3_u32 v118, 0, v10, v11
	v_mul_u32_u24_e32 v10, 0x320, v207
	v_lshlrev_b32_e32 v11, 3, v208
	ds_store_2addr_b64 v122, v[124:125], v[2:3] offset0:40 offset1:50
	ds_store_2addr_b64 v122, v[72:73], v[120:121] offset0:60 offset1:70
	ds_store_2addr_b64 v122, v[58:59], v[48:49] offset0:80 offset1:90
	ds_store_2addr_b64 v118, v[32:33], v[38:39] offset1:10
	v_add_nc_u32_e32 v152, 0x2800, v196
	v_add_nc_u32_e32 v155, 0x3c00, v196
	v_cmp_gt_u32_e64 s0, 0x64, v175
	v_add3_u32 v58, 0, v10, v11
	ds_store_2addr_b64 v118, v[50:51], v[62:63] offset0:20 offset1:30
	ds_store_2addr_b64 v118, v[70:71], v[12:13] offset0:40 offset1:50
	;; [unrolled: 1-line block ×4, first 2 shown]
	ds_store_2addr_b64 v58, v[8:9], v[74:75] offset1:10
	ds_store_2addr_b64 v58, v[84:85], v[86:87] offset0:20 offset1:30
	ds_store_2addr_b64 v58, v[88:89], v[0:1] offset0:40 offset1:50
	;; [unrolled: 1-line block ×4, first 2 shown]
	v_mul_lo_u16 v30, v206, 41
	v_add_nc_u32_e32 v31, 0xffffff9c, v175
	v_add_nc_u32_e32 v202, 0x1000, v196
	;; [unrolled: 1-line block ×4, first 2 shown]
	v_lshrrev_b16 v160, 12, v30
	v_add_nc_u32_e32 v154, 0x6400, v196
	v_add_nc_u32_e32 v156, 0x2000, v196
	;; [unrolled: 1-line block ×5, first 2 shown]
	v_lshl_add_u32 v205, v173, 3, 0
	global_wb scope:SCOPE_SE
	s_wait_dscnt 0x0
	s_barrier_signal -1
	s_barrier_wait -1
	global_inv scope:SCOPE_SE
	ds_load_b64 v[86:87], v196
	ds_load_2addr_b64 v[72:75], v202 offset0:88 offset1:208
	ds_load_2addr_b64 v[4:7], v156 offset0:56 offset1:176
	;; [unrolled: 1-line block ×7, first 2 shown]
	ds_load_b64 v[84:85], v200
	ds_load_b64 v[80:81], v201
	ds_load_2addr_b64 v[36:39], v153 offset0:72 offset1:192
	ds_load_2addr_b64 v[32:35], v155 offset0:120 offset1:240
	;; [unrolled: 1-line block ×5, first 2 shown]
	ds_load_b64 v[78:79], v205
	ds_load_b64 v[82:83], v197
	ds_load_b64 v[88:89], v196 offset:27840
	global_wb scope:SCOPE_SE
	s_wait_dscnt 0x0
	s_barrier_signal -1
	s_barrier_wait -1
	global_inv scope:SCOPE_SE
	ds_store_2addr_b64 v122, v[146:147], v[102:103] offset1:10
	ds_store_2addr_b64 v122, v[52:53], v[44:45] offset0:20 offset1:30
	ds_store_2addr_b64 v122, v[126:127], v[24:25] offset0:40 offset1:50
	;; [unrolled: 1-line block ×3, first 2 shown]
	s_wait_alu 0xf1ff
	v_cndmask_b32_e64 v161, v31, v175, s0
	v_mul_lo_u16 v24, 0x64, v160
	v_mov_b32_e32 v77, 0
	ds_store_2addr_b64 v122, v[90:91], v[92:93] offset0:80 offset1:90
	ds_store_2addr_b64 v118, v[98:99], v[108:109] offset1:10
	ds_store_2addr_b64 v118, v[116:117], v[134:135] offset0:20 offset1:30
	v_mul_i32_i24_e32 v76, 5, v161
	v_sub_nc_u16 v24, v171, v24
	ds_store_2addr_b64 v118, v[138:139], v[106:107] offset0:40 offset1:50
	ds_store_2addr_b64 v118, v[40:41], v[94:95] offset0:60 offset1:70
	;; [unrolled: 1-line block ×3, first 2 shown]
	ds_store_2addr_b64 v58, v[100:101], v[114:115] offset1:10
	v_lshlrev_b64_e32 v[20:21], 4, v[76:77]
	v_and_b32_e32 v76, 0xff, v24
	ds_store_2addr_b64 v58, v[104:105], v[110:111] offset0:20 offset1:30
	ds_store_2addr_b64 v58, v[112:113], v[42:43] offset0:40 offset1:50
	;; [unrolled: 1-line block ×4, first 2 shown]
	global_wb scope:SCOPE_SE
	s_wait_dscnt 0x0
	s_barrier_signal -1
	s_barrier_wait -1
	v_mul_u32_u24_e32 v22, 5, v76
	v_add_co_u32 v20, s0, s4, v20
	s_wait_alu 0xf1ff
	v_add_co_ci_u32_e64 v21, s0, s5, v21, s0
	s_delay_alu instid0(VALU_DEP_3)
	v_lshlrev_b32_e32 v22, 4, v22
	global_inv scope:SCOPE_SE
	s_clause 0x3
	global_load_b128 v[92:95], v[20:21], off offset:1440
	global_load_b128 v[96:99], v22, s[4:5] offset:1440
	global_load_b128 v[100:103], v[20:21], off offset:1472
	global_load_b128 v[104:107], v22, s[4:5] offset:1472
	v_lshrrev_b16 v23, 2, v170
	s_clause 0x1
	global_load_b128 v[110:113], v[20:21], off offset:1504
	global_load_b128 v[118:121], v22, s[4:5] offset:1504
	v_lshrrev_b16 v24, 2, v172
	s_clause 0x1
	global_load_b128 v[124:127], v22, s[4:5] offset:1456
	global_load_b128 v[134:137], v22, s[4:5] offset:1488
	v_and_b32_e32 v23, 0xffff, v23
	s_mov_b32 s6, 0xe8584caa
	v_and_b32_e32 v24, 0xffff, v24
	s_mov_b32 s7, 0xbfebb67a
	s_mov_b32 s3, 0x3febb67a
	v_mul_u32_u24_e32 v23, 0x147b, v23
	s_wait_alu 0xfffe
	s_mov_b32 s2, s6
	v_mul_u32_u24_e32 v24, 0x147b, v24
	v_cmp_lt_u32_e64 s0, 0x63, v175
	v_lshrrev_b32_e32 v162, 17, v23
	s_delay_alu instid0(VALU_DEP_3) | instskip(NEXT) | instid1(VALU_DEP_2)
	v_lshrrev_b32_e32 v164, 17, v24
	v_mul_lo_u16 v23, 0x64, v162
	s_delay_alu instid0(VALU_DEP_1) | instskip(NEXT) | instid1(VALU_DEP_1)
	v_sub_nc_u16 v23, v170, v23
	v_and_b32_e32 v163, 0xffff, v23
	s_delay_alu instid0(VALU_DEP_1) | instskip(NEXT) | instid1(VALU_DEP_1)
	v_mul_u32_u24_e32 v23, 5, v163
	v_lshlrev_b32_e32 v23, 4, v23
	s_clause 0x2
	global_load_b128 v[130:133], v23, s[4:5] offset:1456
	global_load_b128 v[138:141], v23, s[4:5] offset:1488
	;; [unrolled: 1-line block ×3, first 2 shown]
	v_mul_lo_u16 v22, 0x64, v164
	s_delay_alu instid0(VALU_DEP_1) | instskip(NEXT) | instid1(VALU_DEP_1)
	v_sub_nc_u16 v22, v172, v22
	v_and_b32_e32 v165, 0xffff, v22
	s_delay_alu instid0(VALU_DEP_1) | instskip(NEXT) | instid1(VALU_DEP_1)
	v_mul_u32_u24_e32 v22, 5, v165
	v_lshlrev_b32_e32 v44, 4, v22
	s_clause 0x1
	global_load_b128 v[146:149], v44, s[4:5] offset:1440
	global_load_b128 v[206:209], v23, s[4:5] offset:1472
	v_lshrrev_b16 v22, 2, v173
	s_clause 0x4
	global_load_b128 v[210:213], v44, s[4:5] offset:1472
	global_load_b128 v[222:225], v23, s[4:5] offset:1504
	global_load_b128 v[214:217], v[20:21], off offset:1456
	global_load_b128 v[226:229], v44, s[4:5] offset:1504
	global_load_b128 v[218:221], v[20:21], off offset:1488
	v_and_b32_e32 v22, 0xffff, v22
	s_delay_alu instid0(VALU_DEP_1) | instskip(NEXT) | instid1(VALU_DEP_1)
	v_mul_u32_u24_e32 v22, 0x147b, v22
	v_lshrrev_b32_e32 v166, 17, v22
	s_delay_alu instid0(VALU_DEP_1) | instskip(NEXT) | instid1(VALU_DEP_1)
	v_mul_lo_u16 v20, 0x64, v166
	v_sub_nc_u16 v20, v173, v20
	s_delay_alu instid0(VALU_DEP_1) | instskip(NEXT) | instid1(VALU_DEP_1)
	v_and_b32_e32 v167, 0xffff, v20
	v_mul_u32_u24_e32 v20, 5, v167
	s_delay_alu instid0(VALU_DEP_1)
	v_lshlrev_b32_e32 v56, 4, v20
	s_clause 0x6
	global_load_b128 v[28:31], v56, s[4:5] offset:1440
	global_load_b128 v[24:27], v44, s[4:5] offset:1456
	;; [unrolled: 1-line block ×7, first 2 shown]
	ds_load_2addr_b64 v[230:233], v202 offset0:88 offset1:208
	ds_load_2addr_b64 v[234:237], v199 offset0:8 offset1:128
	;; [unrolled: 1-line block ×4, first 2 shown]
	s_wait_loadcnt_dscnt 0x1803
	v_mul_f64_e32 v[90:91], v[230:231], v[94:95]
	v_mul_f64_e32 v[94:95], v[72:73], v[94:95]
	s_wait_loadcnt 0x17
	v_mul_f64_e32 v[108:109], v[232:233], v[98:99]
	v_mul_f64_e32 v[98:99], v[74:75], v[98:99]
	s_wait_loadcnt_dscnt 0x1602
	v_mul_f64_e32 v[114:115], v[234:235], v[102:103]
	v_mul_f64_e32 v[102:103], v[68:69], v[102:103]
	s_wait_loadcnt 0x14
	v_mul_f64_e32 v[168:169], v[64:65], v[112:113]
	v_fma_f64 v[90:91], v[72:73], v[92:93], v[90:91]
	v_fma_f64 v[116:117], v[230:231], v[92:93], -v[94:95]
	v_fma_f64 v[72:73], v[74:75], v[96:97], v[108:109]
	v_fma_f64 v[92:93], v[232:233], v[96:97], -v[98:99]
	ds_load_2addr_b64 v[94:97], v203 offset0:56 offset1:176
	v_mul_f64_e32 v[74:75], v[236:237], v[106:107]
	v_mul_f64_e32 v[106:107], v[70:71], v[106:107]
	v_fma_f64 v[122:123], v[68:69], v[100:101], v[114:115]
	ds_load_2addr_b64 v[230:233], v152 offset0:40 offset1:160
	v_fma_f64 v[98:99], v[234:235], v[100:101], -v[102:103]
	s_wait_loadcnt 0x13
	v_mul_f64_e32 v[102:103], v[66:67], v[120:121]
	s_wait_loadcnt 0x12
	v_mul_f64_e32 v[114:115], v[60:61], v[126:127]
	s_wait_dscnt 0x1
	v_mul_f64_e32 v[150:151], v[94:95], v[112:113]
	v_mul_f64_e32 v[68:69], v[96:97], v[120:121]
	v_fma_f64 v[100:101], v[94:95], v[110:111], -v[168:169]
	s_wait_loadcnt 0x11
	v_mul_f64_e32 v[120:121], v[48:49], v[136:137]
	s_wait_loadcnt 0xb
	v_mul_f64_e32 v[168:169], v[34:35], v[212:213]
	v_fma_f64 v[108:109], v[70:71], v[104:105], v[74:75]
	v_fma_f64 v[74:75], v[236:237], v[104:105], -v[106:107]
	ds_load_2addr_b64 v[234:237], v204 offset0:88 offset1:208
	s_wait_dscnt 0x1
	v_mul_f64_e32 v[104:105], v[230:231], v[126:127]
	v_fma_f64 v[112:113], v[64:65], v[110:111], v[150:151]
	v_mul_f64_e32 v[64:65], v[232:233], v[132:133]
	v_mul_f64_e32 v[110:111], v[62:63], v[132:133]
	v_fma_f64 v[70:71], v[66:67], v[118:119], v[68:69]
	s_wait_dscnt 0x0
	v_mul_f64_e32 v[66:67], v[234:235], v[136:137]
	v_mul_f64_e32 v[126:127], v[236:237], v[140:141]
	;; [unrolled: 1-line block ×3, first 2 shown]
	v_fma_f64 v[68:69], v[96:97], v[118:119], -v[102:103]
	v_mul_f64_e32 v[136:137], v[38:39], v[148:149]
	v_fma_f64 v[96:97], v[230:231], v[124:125], -v[114:115]
	v_mul_f64_e32 v[140:141], v[242:243], v[208:209]
	s_wait_loadcnt 0x7
	v_mul_f64_e32 v[150:151], v[2:3], v[220:221]
	v_fma_f64 v[106:107], v[60:61], v[124:125], v[104:105]
	v_mul_f64_e32 v[124:125], v[36:37], v[144:145]
	v_fma_f64 v[94:95], v[62:63], v[130:131], v[64:65]
	v_mul_f64_e32 v[64:65], v[238:239], v[144:145]
	v_fma_f64 v[102:103], v[232:233], v[130:131], -v[110:111]
	v_mul_f64_e32 v[130:131], v[240:241], v[148:149]
	v_fma_f64 v[118:119], v[48:49], v[134:135], v[66:67]
	ds_load_2addr_b64 v[60:63], v156 offset0:56 offset1:176
	v_fma_f64 v[104:105], v[50:51], v[138:139], v[126:127]
	ds_load_2addr_b64 v[48:51], v157 offset0:104 offset1:224
	v_mul_f64_e32 v[144:145], v[32:33], v[208:209]
	ds_load_2addr_b64 v[230:233], v154 offset0:40 offset1:160
	v_fma_f64 v[110:111], v[234:235], v[134:135], -v[120:121]
	v_fma_f64 v[114:115], v[236:237], v[138:139], -v[132:133]
	v_mul_f64_e32 v[132:133], v[244:245], v[212:213]
	v_mul_f64_e32 v[138:139], v[6:7], v[216:217]
	;; [unrolled: 1-line block ×3, first 2 shown]
	v_fma_f64 v[124:125], v[238:239], v[142:143], -v[124:125]
	s_wait_dscnt 0x2
	v_mul_f64_e32 v[134:135], v[62:63], v[216:217]
	s_wait_dscnt 0x1
	v_mul_f64_e32 v[148:149], v[50:51], v[220:221]
	;; [unrolled: 2-line block ×3, first 2 shown]
	v_fma_f64 v[120:121], v[36:37], v[142:143], v[64:65]
	v_fma_f64 v[64:65], v[240:241], v[146:147], -v[136:137]
	v_fma_f64 v[66:67], v[38:39], v[146:147], v[130:131]
	v_mul_f64_e32 v[146:147], v[230:231], v[224:225]
	ds_load_2addr_b64 v[36:39], v159 offset0:24 offset1:144
	v_fma_f64 v[130:131], v[32:33], v[206:207], v[140:141]
	s_wait_loadcnt 0x6
	v_mul_f64_e32 v[142:143], v[4:5], v[30:31]
	v_fma_f64 v[126:127], v[242:243], v[206:207], -v[144:145]
	v_mul_f64_e32 v[206:207], v[16:17], v[224:225]
	v_mul_f64_e32 v[144:145], v[60:61], v[30:31]
	v_fma_f64 v[136:137], v[50:51], v[218:219], -v[150:151]
	v_fma_f64 v[34:35], v[34:35], v[210:211], v[132:133]
	v_fma_f64 v[62:63], v[62:63], v[214:215], -v[138:139]
	s_wait_loadcnt 0x5
	v_mul_f64_e32 v[138:139], v[12:13], v[26:27]
	s_wait_loadcnt 0x4
	v_mul_f64_e32 v[150:151], v[14:15], v[22:23]
	ds_load_2addr_b64 v[30:33], v158 offset0:72 offset1:192
	v_fma_f64 v[132:133], v[6:7], v[214:215], v[134:135]
	s_wait_dscnt 0x1
	v_mul_f64_e32 v[140:141], v[36:37], v[26:27]
	v_fma_f64 v[134:135], v[2:3], v[218:219], v[148:149]
	v_fma_f64 v[26:27], v[244:245], v[210:211], -v[168:169]
	v_mul_f64_e32 v[148:149], v[38:39], v[22:23]
	v_fma_f64 v[6:7], v[18:19], v[226:227], v[208:209]
	v_fma_f64 v[2:3], v[232:233], v[226:227], -v[212:213]
	s_wait_loadcnt 0x3
	v_mul_f64_e32 v[18:19], v[48:49], v[42:43]
	v_mul_f64_e32 v[22:23], v[0:1], v[42:43]
	v_add_f64_e32 v[210:211], v[98:99], v[100:101]
	s_wait_loadcnt 0x1
	v_mul_f64_e32 v[212:213], v[88:89], v[54:55]
	s_wait_dscnt 0x0
	v_mul_f64_e32 v[208:209], v[30:31], v[46:47]
	v_mul_f64_e32 v[46:47], v[8:9], v[46:47]
	v_add_f64_e32 v[214:215], v[122:123], v[112:113]
	v_fma_f64 v[16:17], v[16:17], v[222:223], v[146:147]
	ds_load_b64 v[146:147], v196 offset:27840
	v_fma_f64 v[50:51], v[230:231], v[222:223], -v[206:207]
	ds_load_b64 v[42:43], v197
	ds_load_b64 v[168:169], v205
	;; [unrolled: 1-line block ×3, first 2 shown]
	v_fma_f64 v[4:5], v[4:5], v[28:29], v[144:145]
	s_wait_loadcnt 0x0
	v_mul_f64_e32 v[144:145], v[32:33], v[58:59]
	v_mul_f64_e32 v[58:59], v[10:11], v[58:59]
	v_fma_f64 v[28:29], v[60:61], v[28:29], -v[142:143]
	v_add_f64_e32 v[60:61], v[74:75], v[68:69]
	s_wait_dscnt 0x3
	v_mul_f64_e32 v[54:55], v[146:147], v[54:55]
	v_fma_f64 v[12:13], v[12:13], v[24:25], v[140:141]
	v_add_f64_e32 v[140:141], v[132:133], v[134:135]
	v_add_f64_e32 v[142:143], v[86:87], v[132:133]
	v_fma_f64 v[24:25], v[36:37], v[24:25], -v[138:139]
	s_wait_dscnt 0x0
	v_add_f64_e32 v[36:37], v[206:207], v[62:63]
	v_add_f64_e32 v[138:139], v[62:63], v[136:137]
	v_fma_f64 v[0:1], v[0:1], v[40:41], v[18:19]
	v_fma_f64 v[18:19], v[48:49], v[40:41], -v[22:23]
	v_add_f64_e32 v[22:23], v[116:117], v[98:99]
	v_fma_f64 v[40:41], v[210:211], -0.5, v[116:117]
	v_fma_f64 v[116:117], v[146:147], v[52:53], -v[212:213]
	v_fma_f64 v[14:15], v[14:15], v[20:21], v[148:149]
	v_fma_f64 v[20:21], v[38:39], v[20:21], -v[150:151]
	ds_load_b64 v[38:39], v200
	v_fma_f64 v[8:9], v[8:9], v[44:45], v[208:209]
	v_add_f64_e64 v[48:49], v[122:123], -v[112:113]
	v_fma_f64 v[30:31], v[30:31], v[44:45], -v[46:47]
	v_add_f64_e32 v[44:45], v[106:107], v[118:119]
	v_add_f64_e64 v[132:133], v[132:133], -v[134:135]
	v_add_f64_e32 v[148:149], v[90:91], v[122:123]
	v_add_f64_e32 v[122:123], v[84:85], v[106:107]
	v_add_f64_e64 v[62:63], v[62:63], -v[136:137]
	v_add_f64_e32 v[146:147], v[130:131], v[16:17]
	v_add_f64_e64 v[98:99], v[98:99], -v[100:101]
	v_fma_f64 v[10:11], v[10:11], v[56:57], v[144:145]
	v_fma_f64 v[32:33], v[32:33], v[56:57], -v[58:59]
	ds_load_b64 v[58:59], v201
	v_add_f64_e64 v[56:57], v[108:109], -v[70:71]
	v_add_f64_e32 v[144:145], v[102:103], v[114:115]
	v_fma_f64 v[90:91], v[214:215], -0.5, v[90:91]
	v_add_f64_e32 v[210:211], v[124:125], v[126:127]
	v_add_f64_e64 v[106:107], v[106:107], -v[118:119]
	global_wb scope:SCOPE_SE
	s_wait_dscnt 0x0
	s_barrier_signal -1
	s_barrier_wait -1
	global_inv scope:SCOPE_SE
	v_fma_f64 v[46:47], v[88:89], v[52:53], v[54:55]
	v_add_f64_e32 v[88:89], v[126:127], v[50:51]
	v_add_f64_e32 v[52:53], v[108:109], v[70:71]
	v_fma_f64 v[54:55], v[60:61], -0.5, v[92:93]
	v_add_f64_e32 v[60:61], v[38:39], v[96:97]
	v_fma_f64 v[86:87], v[140:141], -0.5, v[86:87]
	v_add_f64_e32 v[140:141], v[142:143], v[134:135]
	v_add_f64_e32 v[108:109], v[72:73], v[108:109]
	;; [unrolled: 1-line block ×4, first 2 shown]
	v_fma_f64 v[136:137], v[138:139], -0.5, v[206:207]
	v_add_f64_e32 v[138:139], v[96:97], v[110:111]
	v_add_f64_e32 v[142:143], v[94:95], v[104:105]
	;; [unrolled: 1-line block ×5, first 2 shown]
	s_wait_alu 0xfffe
	v_fma_f64 v[100:101], v[48:49], s[2:3], v[40:41]
	v_fma_f64 v[40:41], v[48:49], s[6:7], v[40:41]
	v_fma_f64 v[44:45], v[44:45], -0.5, v[84:85]
	v_add_f64_e32 v[48:49], v[12:13], v[8:9]
	v_add_f64_e64 v[84:85], v[96:97], -v[110:111]
	v_add_f64_e64 v[96:97], v[130:131], -v[16:17]
	v_add_f64_e32 v[112:113], v[148:149], v[112:113]
	v_add_f64_e32 v[148:149], v[80:81], v[94:95]
	;; [unrolled: 1-line block ×4, first 2 shown]
	v_add_f64_e64 v[102:103], v[102:103], -v[114:115]
	v_fma_f64 v[120:121], v[146:147], -0.5, v[120:121]
	v_add_f64_e32 v[92:93], v[92:93], v[74:75]
	v_add_f64_e64 v[94:95], v[94:95], -v[104:105]
	v_add_f64_e32 v[118:119], v[24:25], v[30:31]
	v_fma_f64 v[58:59], v[144:145], -0.5, v[58:59]
	v_add_f64_e64 v[130:131], v[26:27], -v[2:3]
	v_add_f64_e32 v[26:27], v[64:65], v[26:27]
	v_fma_f64 v[88:89], v[88:89], -0.5, v[124:125]
	v_add_f64_e64 v[124:125], v[34:35], -v[6:7]
	v_fma_f64 v[52:53], v[52:53], -0.5, v[72:73]
	v_add_f64_e32 v[60:61], v[60:61], v[110:111]
	v_add_f64_e64 v[110:111], v[126:127], -v[50:51]
	v_add_f64_e64 v[72:73], v[74:75], -v[68:69]
	v_add_f64_e32 v[70:71], v[108:109], v[70:71]
	v_add_f64_e32 v[108:109], v[34:35], v[6:7]
	v_fma_f64 v[126:127], v[134:135], -0.5, v[64:65]
	v_add_f64_e32 v[134:135], v[0:1], v[46:47]
	v_fma_f64 v[38:39], v[138:139], -0.5, v[38:39]
	v_fma_f64 v[80:81], v[142:143], -0.5, v[80:81]
	v_add_f64_e64 v[138:139], v[0:1], -v[46:47]
	v_fma_f64 v[146:147], v[208:209], -0.5, v[28:29]
	v_fma_f64 v[74:75], v[56:57], s[2:3], v[54:55]
	v_fma_f64 v[54:55], v[56:57], s[6:7], v[54:55]
	v_add_f64_e32 v[56:57], v[82:83], v[12:13]
	v_fma_f64 v[142:143], v[98:99], s[6:7], v[90:91]
	v_fma_f64 v[48:49], v[48:49], -0.5, v[82:83]
	v_fma_f64 v[82:83], v[62:63], s[6:7], v[86:87]
	v_fma_f64 v[62:63], v[62:63], s[2:3], v[86:87]
	v_mul_f64_e32 v[144:145], s[6:7], v[100:101]
	v_mul_f64_e32 v[100:101], 0.5, v[100:101]
	v_add_f64_e32 v[50:51], v[210:211], v[50:51]
	v_fma_f64 v[90:91], v[98:99], s[2:3], v[90:91]
	v_mul_f64_e32 v[98:99], s[6:7], v[40:41]
	v_mul_f64_e32 v[40:41], -0.5, v[40:41]
	v_add_f64_e32 v[208:209], v[36:37], v[22:23]
	v_add_f64_e64 v[210:211], v[36:37], -v[22:23]
	v_add_f64_e32 v[16:17], v[206:207], v[16:17]
	v_fma_f64 v[206:207], v[132:133], s[2:3], v[136:137]
	v_add_f64_e32 v[104:105], v[148:149], v[104:105]
	v_fma_f64 v[36:37], v[84:85], s[6:7], v[44:45]
	v_fma_f64 v[44:45], v[84:85], s[2:3], v[44:45]
	v_add_f64_e32 v[114:115], v[150:151], v[114:115]
	v_add_f64_e32 v[68:69], v[92:93], v[68:69]
	v_add_f64_e64 v[92:93], v[24:25], -v[30:31]
	v_add_f64_e32 v[24:25], v[42:43], v[24:25]
	v_fma_f64 v[86:87], v[96:97], s[2:3], v[88:89]
	v_fma_f64 v[88:89], v[96:97], s[6:7], v[88:89]
	;; [unrolled: 1-line block ×3, first 2 shown]
	v_add_f64_e32 v[132:133], v[140:141], v[112:113]
	v_add_f64_e64 v[112:113], v[140:141], -v[112:113]
	v_add_f64_e64 v[140:141], v[18:19], -v[116:117]
	v_add_f64_e32 v[136:137], v[122:123], v[70:71]
	v_fma_f64 v[22:23], v[108:109], -0.5, v[66:67]
	v_fma_f64 v[108:109], v[124:125], s[2:3], v[126:127]
	v_fma_f64 v[124:125], v[124:125], s[6:7], v[126:127]
	v_add_f64_e32 v[126:127], v[14:15], v[10:11]
	v_add_f64_e64 v[70:71], v[122:123], -v[70:71]
	v_fma_f64 v[122:123], v[102:103], s[6:7], v[80:81]
	v_fma_f64 v[134:135], v[134:135], -0.5, v[4:5]
	v_fma_f64 v[80:81], v[102:103], s[2:3], v[80:81]
	v_fma_f64 v[102:103], v[138:139], s[2:3], v[146:147]
	;; [unrolled: 1-line block ×5, first 2 shown]
	v_mul_f64_e32 v[72:73], s[6:7], v[54:55]
	v_fma_f64 v[84:85], v[106:107], s[2:3], v[38:39]
	v_fma_f64 v[38:39], v[106:107], s[6:7], v[38:39]
	v_add_f64_e32 v[106:107], v[20:21], v[32:33]
	v_mul_f64_e32 v[54:55], -0.5, v[54:55]
	v_mul_f64_e32 v[150:151], s[6:7], v[74:75]
	v_mul_f64_e32 v[74:75], 0.5, v[74:75]
	v_fma_f64 v[146:147], v[94:95], s[2:3], v[58:59]
	v_fma_f64 v[58:59], v[94:95], s[6:7], v[58:59]
	;; [unrolled: 1-line block ×4, first 2 shown]
	v_fma_f64 v[42:43], v[118:119], -0.5, v[42:43]
	v_add_f64_e32 v[34:35], v[66:67], v[34:35]
	v_fma_f64 v[120:121], v[142:143], 0.5, v[144:145]
	v_add_f64_e64 v[12:13], v[12:13], -v[8:9]
	v_fma_f64 v[100:101], v[142:143], s[2:3], v[100:101]
	v_fma_f64 v[40:41], v[90:91], s[2:3], v[40:41]
	v_fma_f64 v[98:99], v[90:91], -0.5, v[98:99]
	v_add_f64_e64 v[144:145], v[20:21], -v[32:33]
	v_mul_f64_e32 v[66:67], s[6:7], v[86:87]
	v_mul_f64_e32 v[118:119], s[6:7], v[88:89]
	v_mul_f64_e32 v[86:87], 0.5, v[86:87]
	v_mul_f64_e32 v[88:89], -0.5, v[88:89]
	v_add_f64_e32 v[0:1], v[4:5], v[0:1]
	v_add_f64_e32 v[18:19], v[28:29], v[18:19]
	;; [unrolled: 1-line block ×3, first 2 shown]
	v_fma_f64 v[64:65], v[130:131], s[6:7], v[22:23]
	v_fma_f64 v[22:23], v[130:131], s[2:3], v[22:23]
	v_mul_f64_e32 v[130:131], s[6:7], v[108:109]
	v_mul_f64_e32 v[142:143], s[6:7], v[124:125]
	v_mul_f64_e32 v[124:125], -0.5, v[124:125]
	v_fma_f64 v[126:127], v[126:127], -0.5, v[78:79]
	v_add_f64_e32 v[78:79], v[78:79], v[14:15]
	v_fma_f64 v[4:5], v[140:141], s[6:7], v[134:135]
	v_mul_f64_e32 v[28:29], s[6:7], v[102:103]
	v_mul_f64_e32 v[108:109], 0.5, v[108:109]
	v_fma_f64 v[134:135], v[140:141], s[2:3], v[134:135]
	v_mul_f64_e32 v[140:141], s[6:7], v[138:139]
	v_fma_f64 v[72:73], v[52:53], -0.5, v[72:73]
	v_add_f64_e64 v[14:15], v[14:15], -v[10:11]
	v_add_f64_e32 v[8:9], v[56:57], v[8:9]
	v_fma_f64 v[106:107], v[106:107], -0.5, v[168:169]
	v_fma_f64 v[52:53], v[52:53], s[2:3], v[54:55]
	v_mul_f64_e32 v[54:55], 0.5, v[102:103]
	v_fma_f64 v[90:91], v[148:149], 0.5, v[150:151]
	v_mul_f64_e32 v[56:57], -0.5, v[138:139]
	v_fma_f64 v[74:75], v[148:149], s[2:3], v[74:75]
	v_fma_f64 v[102:103], v[92:93], s[6:7], v[48:49]
	;; [unrolled: 1-line block ×3, first 2 shown]
	v_add_f64_e32 v[24:25], v[24:25], v[30:31]
	v_add_f64_e32 v[6:7], v[34:35], v[6:7]
	;; [unrolled: 1-line block ×3, first 2 shown]
	v_fma_f64 v[30:31], v[12:13], s[2:3], v[42:43]
	v_fma_f64 v[12:13], v[12:13], s[6:7], v[42:43]
	v_add_f64_e32 v[92:93], v[62:63], v[98:99]
	v_add_f64_e64 v[62:63], v[62:63], -v[98:99]
	v_fma_f64 v[34:35], v[94:95], 0.5, v[66:67]
	v_fma_f64 v[66:67], v[110:111], -0.5, v[118:119]
	v_fma_f64 v[42:43], v[94:95], s[2:3], v[86:87]
	v_fma_f64 v[86:87], v[110:111], s[2:3], v[88:89]
	v_add_f64_e32 v[110:111], v[96:97], v[40:41]
	v_add_f64_e64 v[40:41], v[96:97], -v[40:41]
	v_add_f64_e32 v[94:95], v[206:207], v[100:101]
	v_add_f64_e64 v[98:99], v[206:207], -v[100:101]
	v_add_f64_e32 v[0:1], v[0:1], v[46:47]
	v_fma_f64 v[26:27], v[64:65], 0.5, v[130:131]
	v_fma_f64 v[96:97], v[22:23], -0.5, v[142:143]
	v_fma_f64 v[22:23], v[22:23], s[2:3], v[124:125]
	v_fma_f64 v[100:101], v[144:145], s[6:7], v[126:127]
	v_add_f64_e32 v[10:11], v[78:79], v[10:11]
	v_add_f64_e32 v[20:21], v[20:21], v[32:33]
	v_fma_f64 v[28:29], v[4:5], 0.5, v[28:29]
	v_fma_f64 v[64:65], v[64:65], s[2:3], v[108:109]
	v_fma_f64 v[108:109], v[144:145], s[2:3], v[126:127]
	v_fma_f64 v[78:79], v[134:135], -0.5, v[140:141]
	v_add_f64_e32 v[88:89], v[82:83], v[120:121]
	v_add_f64_e64 v[82:83], v[82:83], -v[120:121]
	v_add_f64_e32 v[18:19], v[18:19], v[116:117]
	v_fma_f64 v[32:33], v[14:15], s[2:3], v[106:107]
	v_fma_f64 v[14:15], v[14:15], s[6:7], v[106:107]
	;; [unrolled: 1-line block ×3, first 2 shown]
	v_add_f64_e32 v[46:47], v[36:37], v[90:91]
	v_fma_f64 v[56:57], v[134:135], s[2:3], v[56:57]
	v_add_f64_e32 v[106:107], v[44:45], v[72:73]
	v_add_f64_e64 v[36:37], v[36:37], -v[90:91]
	v_add_f64_e64 v[44:45], v[44:45], -v[72:73]
	v_add_f64_e32 v[54:55], v[60:61], v[68:69]
	v_add_f64_e32 v[116:117], v[84:85], v[74:75]
	;; [unrolled: 1-line block ×3, first 2 shown]
	v_add_f64_e64 v[60:61], v[60:61], -v[68:69]
	v_add_f64_e64 v[68:69], v[84:85], -v[74:75]
	;; [unrolled: 1-line block ×3, first 2 shown]
	v_add_f64_e32 v[38:39], v[104:105], v[16:17]
	v_add_f64_e64 v[16:17], v[104:105], -v[16:17]
	v_add_f64_e32 v[72:73], v[122:123], v[34:35]
	v_add_f64_e32 v[74:75], v[80:81], v[66:67]
	v_add_f64_e64 v[34:35], v[122:123], -v[34:35]
	v_add_f64_e64 v[66:67], v[80:81], -v[66:67]
	v_add_f64_e32 v[120:121], v[58:59], v[86:87]
	v_add_f64_e64 v[58:59], v[58:59], -v[86:87]
	v_add_f64_e32 v[80:81], v[8:9], v[6:7]
	;; [unrolled: 2-line block ×3, first 2 shown]
	v_add_f64_e32 v[86:87], v[102:103], v[26:27]
	v_add_f64_e32 v[90:91], v[48:49], v[96:97]
	v_add_f64_e64 v[8:9], v[102:103], -v[26:27]
	v_add_f64_e64 v[26:27], v[48:49], -v[96:97]
	;; [unrolled: 1-line block ×3, first 2 shown]
	v_add_f64_e32 v[114:115], v[24:25], v[2:3]
	v_add_f64_e32 v[124:125], v[12:13], v[22:23]
	v_add_f64_e64 v[48:49], v[24:25], -v[2:3]
	v_add_f64_e64 v[96:97], v[12:13], -v[22:23]
	v_add_f64_e32 v[2:3], v[10:11], v[0:1]
	v_add_f64_e32 v[12:13], v[100:101], v[28:29]
	;; [unrolled: 1-line block ×3, first 2 shown]
	v_add_f64_e64 v[0:1], v[10:11], -v[0:1]
	v_add_f64_e64 v[10:11], v[100:101], -v[28:29]
	s_wait_alu 0xf1ff
	v_cndmask_b32_e64 v28, 0, 0x12c0, s0
	v_lshlrev_b32_e32 v29, 3, v161
	v_add_f64_e64 v[24:25], v[108:109], -v[78:79]
	v_add_f64_e32 v[104:105], v[146:147], v[42:43]
	v_add_f64_e64 v[42:43], v[146:147], -v[42:43]
	v_add_f64_e32 v[142:143], v[32:33], v[4:5]
	v_add_f64_e64 v[108:109], v[32:33], -v[4:5]
	v_and_b32_e32 v4, 0xffff, v160
	v_add3_u32 v146, 0, v28, v29
	v_lshlrev_b32_e32 v5, 3, v76
	v_add_f64_e32 v[144:145], v[14:15], v[56:57]
	v_add_f64_e64 v[56:57], v[14:15], -v[56:57]
	v_mul_u32_u24_e32 v4, 0x12c0, v4
	v_add_nc_u32_e32 v76, 0x400, v146
	ds_store_2addr_b64 v146, v[132:133], v[88:89] offset1:100
	v_mul_u32_u24_e32 v14, 0x12c0, v166
	v_lshlrev_b32_e32 v15, 3, v167
	v_add3_u32 v147, 0, v4, v5
	ds_store_2addr_b64 v76, v[92:93], v[112:113] offset0:72 offset1:172
	v_add_nc_u32_e32 v92, 0x800, v146
	v_mul_u32_u24_e32 v4, 0x12c0, v162
	v_lshlrev_b32_e32 v5, 3, v163
	ds_store_2addr_b64 v92, v[82:83], v[62:63] offset0:144 offset1:244
	ds_store_2addr_b64 v147, v[136:137], v[46:47] offset1:100
	v_add_nc_u32_e32 v93, 0x400, v147
	v_add3_u32 v46, 0, v4, v5
	v_mul_u32_u24_e32 v4, 0x12c0, v164
	v_lshlrev_b32_e32 v5, 3, v165
	v_add_nc_u32_e32 v112, 0x800, v147
	ds_store_2addr_b64 v93, v[106:107], v[70:71] offset0:72 offset1:172
	ds_store_2addr_b64 v112, v[36:37], v[44:45] offset0:144 offset1:244
	v_add3_u32 v47, 0, v4, v5
	v_add_nc_u32_e32 v45, 0x800, v46
	v_add_nc_u32_e32 v44, 0x400, v46
	v_add3_u32 v62, 0, v14, v15
	ds_store_2addr_b64 v46, v[38:39], v[72:73] offset1:100
	ds_store_2addr_b64 v44, v[74:75], v[16:17] offset0:72 offset1:172
	v_add_nc_u32_e32 v63, 0x400, v47
	ds_store_2addr_b64 v45, v[34:35], v[66:67] offset0:144 offset1:244
	v_add_nc_u32_e32 v66, 0x800, v47
	v_add_nc_u32_e32 v67, 0x400, v62
	;; [unrolled: 1-line block ×3, first 2 shown]
	v_add_f64_e32 v[122:123], v[30:31], v[64:65]
	v_add_f64_e64 v[64:65], v[30:31], -v[64:65]
	v_add_f64_e32 v[126:127], v[20:21], v[18:19]
	v_add_f64_e64 v[78:79], v[20:21], -v[18:19]
	ds_store_2addr_b64 v47, v[80:81], v[86:87] offset1:100
	ds_store_2addr_b64 v63, v[90:91], v[6:7] offset0:72 offset1:172
	ds_store_2addr_b64 v66, v[8:9], v[26:27] offset0:144 offset1:244
	ds_store_2addr_b64 v62, v[2:3], v[12:13] offset1:100
	ds_store_2addr_b64 v67, v[22:23], v[0:1] offset0:72 offset1:172
	ds_store_2addr_b64 v70, v[10:11], v[24:25] offset0:144 offset1:244
	global_wb scope:SCOPE_SE
	s_wait_dscnt 0x0
	s_barrier_signal -1
	s_barrier_wait -1
	global_inv scope:SCOPE_SE
	ds_load_b64 v[136:137], v196
	ds_load_2addr_b64 v[0:3], v202 offset0:88 offset1:208
	ds_load_2addr_b64 v[88:91], v156 offset0:56 offset1:176
	;; [unrolled: 1-line block ×7, first 2 shown]
	ds_load_b64 v[130:131], v200
	ds_load_b64 v[132:133], v201
	ds_load_2addr_b64 v[20:23], v153 offset0:72 offset1:192
	ds_load_2addr_b64 v[28:31], v155 offset0:120 offset1:240
	;; [unrolled: 1-line block ×5, first 2 shown]
	ds_load_b64 v[138:139], v205
	ds_load_b64 v[134:135], v197
	ds_load_b64 v[140:141], v196 offset:27840
	global_wb scope:SCOPE_SE
	s_wait_dscnt 0x0
	s_barrier_signal -1
	s_barrier_wait -1
	global_inv scope:SCOPE_SE
	ds_store_2addr_b64 v146, v[208:209], v[94:95] offset1:100
	ds_store_2addr_b64 v76, v[110:111], v[210:211] offset0:72 offset1:172
	ds_store_2addr_b64 v92, v[98:99], v[40:41] offset0:144 offset1:244
	ds_store_2addr_b64 v147, v[54:55], v[116:117] offset1:100
	ds_store_2addr_b64 v93, v[118:119], v[60:61] offset0:72 offset1:172
	ds_store_2addr_b64 v112, v[68:69], v[52:53] offset0:144 offset1:244
	;; [unrolled: 3-line block ×5, first 2 shown]
	global_wb scope:SCOPE_SE
	s_wait_dscnt 0x0
	s_barrier_signal -1
	s_barrier_wait -1
	global_inv scope:SCOPE_SE
	s_and_saveexec_b32 s0, vcc_lo
	s_cbranch_execz .LBB0_15
; %bb.14:
	v_mul_i32_i24_e32 v76, 5, v173
	v_mul_u32_u24_e32 v42, 5, v175
	v_mul_i32_i24_e32 v206, 0xffffffb8, v171
	s_delay_alu instid0(VALU_DEP_3) | instskip(NEXT) | instid1(VALU_DEP_3)
	v_lshlrev_b64_e32 v[40:41], 4, v[76:77]
	v_lshlrev_b32_e32 v96, 4, v42
	v_mul_i32_i24_e32 v76, 5, v172
	s_delay_alu instid0(VALU_DEP_4) | instskip(NEXT) | instid1(VALU_DEP_4)
	v_add_nc_u32_e32 v195, v195, v206
	v_add_co_u32 v44, vcc_lo, s4, v40
	s_wait_alu 0xfffd
	v_add_co_ci_u32_e32 v45, vcc_lo, s5, v41, vcc_lo
	v_lshlrev_b64_e32 v[40:41], 4, v[76:77]
	v_mul_i32_i24_e32 v76, 5, v170
	s_clause 0x4
	global_load_b128 v[104:107], v96, s[4:5] offset:9488
	global_load_b128 v[148:151], v[44:45], off offset:9472
	global_load_b128 v[160:163], v96, s[4:5] offset:9456
	global_load_b128 v[164:167], v[44:45], off offset:9440
	global_load_b128 v[207:210], v[44:45], off offset:9456
	v_add_co_u32 v40, vcc_lo, s4, v40
	s_wait_alu 0xfffd
	v_add_co_ci_u32_e32 v41, vcc_lo, s5, v41, vcc_lo
	v_lshlrev_b64_e32 v[42:43], 4, v[76:77]
	s_clause 0x3
	global_load_b128 v[211:214], v[40:41], off offset:9456
	global_load_b128 v[215:218], v[44:45], off offset:9488
	;; [unrolled: 1-line block ×4, first 2 shown]
	v_add_co_u32 v68, vcc_lo, s4, v42
	s_wait_alu 0xfffd
	v_add_co_ci_u32_e32 v69, vcc_lo, s5, v43, vcc_lo
	s_clause 0x4
	global_load_b128 v[116:119], v[68:69], off offset:9472
	global_load_b128 v[112:115], v[40:41], off offset:9504
	;; [unrolled: 1-line block ×5, first 2 shown]
	v_mul_i32_i24_e32 v76, 5, v171
	s_clause 0x1
	global_load_b128 v[40:43], v96, s[4:5] offset:9472
	global_load_b128 v[44:47], v[44:45], off offset:9504
	v_lshlrev_b64_e32 v[56:57], 4, v[76:77]
	s_delay_alu instid0(VALU_DEP_1) | instskip(SKIP_1) | instid1(VALU_DEP_2)
	v_add_co_u32 v92, vcc_lo, s4, v56
	s_wait_alu 0xfffd
	v_add_co_ci_u32_e32 v93, vcc_lo, s5, v57, vcc_lo
	s_clause 0x2
	global_load_b128 v[84:87], v96, s[4:5] offset:9504
	global_load_b128 v[56:59], v[92:93], off offset:9472
	global_load_b128 v[60:63], v[92:93], off offset:9504
	ds_load_2addr_b64 v[223:226], v157 offset0:104 offset1:224
	global_load_b128 v[80:83], v[68:69], off offset:9456
	ds_load_2addr_b64 v[227:230], v156 offset0:56 offset1:176
	s_clause 0x4
	global_load_b128 v[76:79], v[68:69], off offset:9488
	global_load_b128 v[72:75], v[92:93], off offset:9456
	;; [unrolled: 1-line block ×4, first 2 shown]
	global_load_b128 v[96:99], v96, s[4:5] offset:9440
	ds_load_2addr_b64 v[231:234], v159 offset0:24 offset1:144
	ds_load_2addr_b64 v[235:238], v158 offset0:72 offset1:192
	v_add_co_u32 v200, vcc_lo, s10, v128
	s_wait_alu 0xfffd
	v_add_co_ci_u32_e32 v201, vcc_lo, s11, v129, vcc_lo
	v_mad_co_u64_u32 v[158:159], null, s8, v194, 0
	s_wait_loadcnt 0x18
	v_mul_f64_e32 v[108:109], v[102:103], v[106:107]
	s_wait_loadcnt_dscnt 0x1703
	v_mul_f64_e32 v[110:111], v[150:151], v[223:224]
	v_mul_f64_e32 v[150:151], v[100:101], v[150:151]
	s_wait_loadcnt 0x16
	v_mul_f64_e32 v[156:157], v[90:91], v[162:163]
	s_wait_loadcnt_dscnt 0x1502
	v_mul_f64_e32 v[168:169], v[166:167], v[227:228]
	v_mul_f64_e32 v[166:167], v[88:89], v[166:167]
	s_wait_loadcnt 0x14
	v_mul_f64_e32 v[172:173], v[38:39], v[209:210]
	s_wait_dscnt 0x1
	v_mul_f64_e32 v[209:210], v[233:234], v[209:210]
	v_mul_f64_e32 v[106:107], v[225:226], v[106:107]
	;; [unrolled: 1-line block ×3, first 2 shown]
	s_wait_loadcnt 0x13
	v_mul_f64_e32 v[239:240], v[36:37], v[213:214]
	v_mul_f64_e32 v[213:214], v[231:232], v[213:214]
	v_fma_f64 v[144:145], v[104:105], v[225:226], -v[108:109]
	v_fma_f64 v[146:147], v[100:101], v[148:149], v[110:111]
	ds_load_2addr_b64 v[124:127], v155 offset0:120 offset1:240
	ds_load_2addr_b64 v[108:111], v154 offset0:40 offset1:160
	v_fma_f64 v[148:149], v[148:149], v[223:224], -v[150:151]
	s_wait_loadcnt 0x12
	v_mul_f64_e32 v[223:224], v[34:35], v[217:218]
	v_fma_f64 v[150:151], v[160:161], v[229:230], -v[156:157]
	s_wait_dscnt 0x2
	v_mul_f64_e32 v[156:157], v[237:238], v[217:218]
	s_wait_loadcnt 0x11
	v_mul_f64_e32 v[217:218], v[32:33], v[221:222]
	v_fma_f64 v[128:129], v[164:165], v[227:228], -v[166:167]
	s_wait_loadcnt 0x10
	v_mul_f64_e32 v[227:228], v[30:31], v[122:123]
	v_fma_f64 v[38:39], v[38:39], v[207:208], v[209:210]
	v_mul_f64_e32 v[221:222], v[235:236], v[221:222]
	s_wait_loadcnt 0xf
	v_mul_f64_e32 v[209:210], v[28:29], v[118:119]
	v_fma_f64 v[90:91], v[90:91], v[160:161], v[162:163]
	v_mad_co_u64_u32 v[160:161], null, s8, v191, 0
	v_fma_f64 v[88:89], v[88:89], v[164:165], v[168:169]
	v_mad_co_u64_u32 v[162:163], null, s8, v189, 0
	v_mad_co_u64_u32 v[164:165], null, s8, v193, 0
	s_wait_dscnt 0x1
	v_mul_f64_e32 v[225:226], v[122:123], v[126:127]
	v_fma_f64 v[122:123], v[207:208], v[233:234], -v[172:173]
	v_mul_f64_e32 v[207:208], v[118:119], v[124:125]
	v_mul_i32_i24_e32 v229, 0xffffffb8, v170
	v_mad_co_u64_u32 v[166:167], null, s8, v181, 0
	v_mad_co_u64_u32 v[168:169], null, s8, v188, 0
	;; [unrolled: 1-line block ×4, first 2 shown]
	v_fma_f64 v[142:143], v[102:103], v[104:105], v[106:107]
	ds_load_2addr_b64 v[104:107], v153 offset0:72 offset1:192
	ds_load_2addr_b64 v[100:103], v152 offset0:40 offset1:160
	v_fma_f64 v[152:153], v[211:212], v[231:232], -v[239:240]
	v_fma_f64 v[36:37], v[36:37], v[211:212], v[213:214]
	v_mad_co_u64_u32 v[211:212], null, s8, v187, 0
	v_mad_co_u64_u32 v[213:214], null, s8, v180, 0
	;; [unrolled: 1-line block ×3, first 2 shown]
	v_fma_f64 v[118:119], v[215:216], v[237:238], -v[223:224]
	v_fma_f64 v[34:35], v[34:35], v[215:216], v[156:157]
	v_fma_f64 v[156:157], v[219:220], v[235:236], -v[217:218]
	v_add_nc_u32_e32 v235, 0x960, v175
	v_mad_co_u64_u32 v[215:216], null, s8, v185, 0
	v_add_nc_u32_e32 v236, v198, v229
	v_mad_co_u64_u32 v[217:218], null, s8, v183, 0
	v_fma_f64 v[32:33], v[32:33], v[219:220], v[221:222]
	v_mad_co_u64_u32 v[219:220], null, s8, v186, 0
	v_mad_co_u64_u32 v[221:222], null, s8, v184, 0
	v_fma_f64 v[209:210], v[116:117], v[124:125], -v[209:210]
	v_mov_b32_e32 v124, v171
	v_fma_f64 v[30:31], v[30:31], v[120:121], v[225:226]
	v_fma_f64 v[120:121], v[120:121], v[126:127], -v[227:228]
	v_dual_mov_b32 v126, v159 :: v_dual_mov_b32 v127, v161
	v_fma_f64 v[207:208], v[28:29], v[116:117], v[207:208]
	v_dual_mov_b32 v28, v163 :: v_dual_mov_b32 v117, v169
	v_mov_b32_e32 v29, v165
	s_delay_alu instid0(VALU_DEP_4)
	v_mad_co_u64_u32 v[225:226], null, s9, v194, v[126:127]
	v_mad_co_u64_u32 v[126:127], null, s9, v191, v[127:128]
	v_dual_mov_b32 v116, v167 :: v_dual_mov_b32 v125, v173
	v_mov_b32_e32 v127, v212
	v_mad_co_u64_u32 v[226:227], null, s9, v189, v[28:29]
	v_mov_b32_e32 v28, v214
	s_delay_alu instid0(VALU_DEP_4)
	v_mad_co_u64_u32 v[227:228], null, s9, v181, v[116:117]
	v_mad_co_u64_u32 v[223:224], null, s8, v179, 0
	;; [unrolled: 1-line block ×6, first 2 shown]
	v_mov_b32_e32 v117, v218
	v_mad_co_u64_u32 v[124:125], null, s9, v175, v[155:156]
	v_add_nc_u32_e32 v237, 0x7f8, v175
	v_mov_b32_e32 v173, v189
	v_dual_mov_b32 v169, v116 :: v_dual_mov_b32 v212, v190
	v_mov_b32_e32 v171, v188
	v_mad_co_u64_u32 v[193:194], null, s9, v193, v[29:30]
	v_mov_b32_e32 v29, v216
	v_mad_co_u64_u32 v[233:234], null, s8, v237, 0
	v_add_nc_u32_e32 v194, 0xc30, v175
	v_lshlrev_b64_e32 v[168:169], 4, v[168:169]
	s_delay_alu instid0(VALU_DEP_4)
	v_mad_co_u64_u32 v[180:181], null, s9, v180, v[28:29]
	v_mov_b32_e32 v28, v220
	v_mad_co_u64_u32 v[191:192], null, s9, v185, v[29:30]
	v_mov_b32_e32 v29, v222
	;; [unrolled: 2-line block ×3, first 2 shown]
	v_mov_b32_e32 v159, v225
	s_delay_alu instid0(VALU_DEP_4) | instskip(SKIP_3) | instid1(VALU_DEP_4)
	v_mad_co_u64_u32 v[185:186], null, s9, v186, v[28:29]
	v_mad_co_u64_u32 v[183:184], null, s9, v184, v[29:30]
	v_dual_mov_b32 v218, v228 :: v_dual_mov_b32 v161, v126
	v_mad_co_u64_u32 v[28:29], null, s8, v182, 0
	v_mov_b32_e32 v220, v185
	s_wait_loadcnt_dscnt 0xd02
	v_mul_f64_e32 v[184:185], v[66:67], v[108:109]
	v_dual_mov_b32 v163, v226 :: v_dual_mov_b32 v222, v183
	v_mad_co_u64_u32 v[225:226], null, s8, v235, 0
	v_dual_mov_b32 v155, v124 :: v_dual_mov_b32 v214, v180
	ds_load_2addr_b64 v[124:127], v199 offset0:8 offset1:128
	v_mul_f64_e32 v[198:199], v[26:27], v[114:115]
	v_mov_b32_e32 v216, v191
	v_mad_co_u64_u32 v[186:187], null, s9, v179, v[117:118]
	v_mov_b32_e32 v165, v193
	v_mul_f64_e32 v[192:193], v[114:115], v[110:111]
	v_mad_co_u64_u32 v[189:190], null, s8, v194, 0
	v_mad_co_u64_u32 v[181:182], null, s9, v182, v[29:30]
	v_dual_mov_b32 v224, v186 :: v_dual_mov_b32 v29, v226
	v_mov_b32_e32 v183, v234
	ds_load_b64 v[187:188], v205
	ds_load_b64 v[229:230], v197
	ds_load_b64 v[231:232], v196 offset:27840
	ds_load_b64 v[196:197], v196
	ds_load_2addr_b64 v[114:117], v204 offset0:88 offset1:208
	v_mul_f64_e32 v[66:67], v[24:25], v[66:67]
	v_lshlrev_b64_e32 v[154:155], 4, v[154:155]
	v_lshlrev_b64_e32 v[158:159], 4, v[158:159]
	;; [unrolled: 1-line block ×6, first 2 shown]
	v_add_co_u32 v154, vcc_lo, v200, v154
	s_wait_alu 0xfffd
	v_add_co_ci_u32_e32 v155, vcc_lo, v201, v155, vcc_lo
	v_add_co_u32 v158, vcc_lo, v200, v158
	s_wait_alu 0xfffd
	v_add_co_ci_u32_e32 v159, vcc_lo, v201, v159, vcc_lo
	v_mad_co_u64_u32 v[204:205], null, s9, v237, v[183:184]
	v_mov_b32_e32 v167, v227
	v_mad_co_u64_u32 v[226:227], null, s9, v235, v[29:30]
	v_mov_b32_e32 v29, v190
	v_fma_f64 v[24:25], v[24:25], v[64:65], v[184:185]
	v_add_co_u32 v160, vcc_lo, v200, v160
	v_mov_b32_e32 v234, v204
	s_delay_alu instid0(VALU_DEP_4)
	v_mad_co_u64_u32 v[190:191], null, s9, v194, v[29:30]
	v_lshlrev_b64_e32 v[204:205], 4, v[211:212]
	v_lshlrev_b64_e32 v[211:212], 4, v[213:214]
	;; [unrolled: 1-line block ×8, first 2 shown]
	s_wait_loadcnt_dscnt 0xc07
	v_mul_f64_e32 v[225:226], v[54:55], v[106:107]
	v_mul_f64_e32 v[54:55], v[22:23], v[54:55]
	v_lshlrev_b64_e32 v[183:184], 4, v[189:190]
	s_wait_loadcnt 0xb
	v_mul_f64_e32 v[189:190], v[50:51], v[104:105]
	v_mul_f64_e32 v[50:51], v[20:21], v[50:51]
	v_fma_f64 v[191:192], v[26:27], v[112:113], v[192:193]
	v_fma_f64 v[193:194], v[112:113], v[110:111], -v[198:199]
	ds_load_2addr_b64 v[110:113], v203 offset0:56 offset1:176
	v_fma_f64 v[64:65], v[64:65], v[108:109], -v[66:67]
	s_wait_loadcnt_dscnt 0xa06
	v_mul_f64_e32 v[66:67], v[42:43], v[124:125]
	s_wait_loadcnt_dscnt 0x903
	v_mul_f64_e32 v[108:109], v[46:47], v[231:232]
	v_mul_f64_e32 v[42:43], v[4:5], v[42:43]
	v_mov_b32_e32 v29, v181
	ds_load_2addr_b64 v[179:182], v202 offset0:88 offset1:208
	v_mul_f64_e32 v[46:47], v[140:141], v[46:47]
	s_wait_alu 0xfffd
	v_add_co_ci_u32_e32 v161, vcc_lo, v201, v161, vcc_lo
	v_lshlrev_b64_e32 v[166:167], 4, v[166:167]
	v_add_co_u32 v162, vcc_lo, v200, v162
	s_wait_alu 0xfffd
	v_add_co_ci_u32_e32 v163, vcc_lo, v201, v163, vcc_lo
	v_add_co_u32 v164, vcc_lo, v200, v164
	s_wait_alu 0xfffd
	v_add_co_ci_u32_e32 v165, vcc_lo, v201, v165, vcc_lo
	;; [unrolled: 3-line block ×3, first 2 shown]
	v_lshlrev_b64_e32 v[172:173], 4, v[172:173]
	v_add_co_u32 v168, vcc_lo, v200, v168
	s_wait_alu 0xfffd
	v_add_co_ci_u32_e32 v169, vcc_lo, v201, v169, vcc_lo
	v_add_co_u32 v170, vcc_lo, v200, v170
	s_wait_alu 0xfffd
	v_add_co_ci_u32_e32 v171, vcc_lo, v201, v171, vcc_lo
	v_fma_f64 v[22:23], v[22:23], v[52:53], v[225:226]
	v_fma_f64 v[52:53], v[52:53], v[106:107], -v[54:55]
	s_wait_loadcnt_dscnt 0x801
	v_mul_f64_e32 v[54:55], v[86:87], v[110:111]
	v_mul_f64_e32 v[86:87], v[8:9], v[86:87]
	v_fma_f64 v[20:21], v[20:21], v[48:49], v[189:190]
	s_wait_loadcnt 0x7
	v_mul_f64_e32 v[106:107], v[6:7], v[58:59]
	v_fma_f64 v[48:49], v[48:49], v[104:105], -v[50:51]
	s_wait_loadcnt 0x6
	v_mul_f64_e32 v[50:51], v[10:11], v[62:63]
	v_fma_f64 v[4:5], v[4:5], v[40:41], v[66:67]
	v_fma_f64 v[108:109], v[140:141], v[44:45], v[108:109]
	s_wait_loadcnt 0x2
	v_mul_f64_e32 v[140:141], v[12:13], v[70:71]
	v_fma_f64 v[40:41], v[40:41], v[124:125], -v[42:43]
	v_mul_f64_e32 v[42:43], v[114:115], v[70:71]
	s_wait_loadcnt_dscnt 0x0
	v_mul_f64_e32 v[70:71], v[98:99], v[179:180]
	v_mul_f64_e32 v[104:105], v[18:19], v[82:83]
	;; [unrolled: 1-line block ×6, first 2 shown]
	v_add_co_u32 v172, vcc_lo, v200, v172
	s_wait_alu 0xfffd
	v_add_co_ci_u32_e32 v173, vcc_lo, v201, v173, vcc_lo
	v_add_co_u32 v189, vcc_lo, v200, v204
	s_wait_alu 0xfffd
	v_add_co_ci_u32_e32 v190, vcc_lo, v201, v205, vcc_lo
	v_add_co_u32 v204, vcc_lo, v200, v211
	s_wait_alu 0xfffd
	v_add_co_ci_u32_e32 v205, vcc_lo, v201, v212, vcc_lo
	v_add_co_u32 v211, vcc_lo, v200, v213
	s_wait_alu 0xfffd
	v_add_co_ci_u32_e32 v212, vcc_lo, v201, v214, vcc_lo
	v_add_co_u32 v213, vcc_lo, v200, v215
	s_wait_alu 0xfffd
	v_add_co_ci_u32_e32 v214, vcc_lo, v201, v216, vcc_lo
	v_mul_f64_e32 v[82:83], v[102:103], v[82:83]
	v_fma_f64 v[8:9], v[8:9], v[84:85], v[54:55]
	v_fma_f64 v[54:55], v[84:85], v[110:111], -v[86:87]
	v_mul_f64_e32 v[86:87], v[0:1], v[98:99]
	v_fma_f64 v[84:85], v[56:57], v[126:127], -v[106:107]
	v_mul_f64_e32 v[215:216], v[14:15], v[78:79]
	v_fma_f64 v[50:51], v[60:61], v[112:113], -v[50:51]
	v_fma_f64 v[44:45], v[44:45], v[231:232], -v[46:47]
	v_mul_f64_e32 v[46:47], v[16:17], v[74:75]
	v_mul_f64_e32 v[74:75], v[100:101], v[74:75]
	;; [unrolled: 1-line block ×3, first 2 shown]
	v_fma_f64 v[12:13], v[12:13], v[68:69], v[42:43]
	v_fma_f64 v[0:1], v[0:1], v[96:97], v[70:71]
	v_fma_f64 v[102:103], v[80:81], v[102:103], -v[104:105]
	v_fma_f64 v[2:3], v[2:3], v[92:93], v[66:67]
	v_fma_f64 v[6:7], v[6:7], v[56:57], v[58:59]
	;; [unrolled: 1-line block ×3, first 2 shown]
	v_fma_f64 v[56:57], v[92:93], v[181:182], -v[94:95]
	v_add_f64_e32 v[58:59], v[150:151], v[144:145]
	v_add_f64_e32 v[62:63], v[196:197], v[150:151]
	;; [unrolled: 1-line block ×5, first 2 shown]
	ds_load_b64 v[202:203], v236
	ds_load_b64 v[98:99], v195
	v_lshlrev_b64_e32 v[185:186], 4, v[233:234]
	v_add_f64_e32 v[181:182], v[36:37], v[32:33]
	v_add_f64_e32 v[233:234], v[48:49], v[209:210]
	v_add_f64_e32 v[106:107], v[88:89], v[146:147]
	v_add_f64_e32 v[225:226], v[207:208], v[24:25]
	v_add_f64_e64 v[227:228], v[207:208], -v[24:25]
	v_add_co_u32 v124, vcc_lo, v200, v217
	s_wait_alu 0xfffd
	v_add_co_ci_u32_e32 v125, vcc_lo, v201, v218, vcc_lo
	v_add_co_u32 v126, vcc_lo, v200, v219
	s_wait_alu 0xfffd
	v_add_co_ci_u32_e32 v127, vcc_lo, v201, v220, vcc_lo
	v_fma_f64 v[18:19], v[18:19], v[80:81], v[82:83]
	v_add_f64_e32 v[70:71], v[40:41], v[54:55]
	v_fma_f64 v[42:43], v[96:97], v[179:180], -v[86:87]
	v_add_f64_e32 v[96:97], v[209:210], v[64:65]
	v_fma_f64 v[80:81], v[76:77], v[116:117], -v[215:216]
	v_add_f64_e32 v[104:105], v[84:85], v[50:51]
	v_add_f64_e32 v[60:61], v[4:5], v[8:9]
	v_fma_f64 v[46:47], v[72:73], v[100:101], -v[46:47]
	v_fma_f64 v[16:17], v[16:17], v[72:73], v[74:75]
	v_fma_f64 v[72:73], v[68:69], v[114:115], -v[140:141]
	v_add_f64_e32 v[68:69], v[136:137], v[90:91]
	v_add_f64_e32 v[86:87], v[122:123], v[118:119]
	;; [unrolled: 1-line block ×3, first 2 shown]
	v_add_f64_e64 v[116:117], v[148:149], -v[44:45]
	v_add_f64_e32 v[148:149], v[120:121], v[193:194]
	v_fma_f64 v[14:15], v[14:15], v[76:77], v[78:79]
	v_add_f64_e64 v[74:75], v[90:91], -v[142:143]
	v_add_f64_e64 v[76:77], v[4:5], -v[8:9]
	;; [unrolled: 1-line block ×3, first 2 shown]
	v_add_f64_e32 v[90:91], v[187:188], v[122:123]
	v_fma_f64 v[58:59], v[58:59], -0.5, v[196:197]
	v_add_f64_e32 v[195:196], v[6:7], v[10:11]
	v_add_f64_e32 v[100:101], v[138:139], v[38:39]
	s_wait_dscnt 0x1
	v_add_f64_e32 v[231:232], v[202:203], v[102:103]
	v_add_co_u32 v217, vcc_lo, v200, v221
	s_wait_alu 0xfffd
	v_add_co_ci_u32_e32 v218, vcc_lo, v201, v222, vcc_lo
	v_add_f64_e64 v[78:79], v[150:151], -v[144:145]
	v_add_f64_e64 v[38:39], v[38:39], -v[34:35]
	v_add_f64_e64 v[110:111], v[122:123], -v[118:119]
	v_add_f64_e32 v[112:113], v[146:147], v[108:109]
	v_add_f64_e32 v[122:123], v[152:153], v[156:157]
	v_add_f64_e64 v[140:141], v[146:147], -v[108:109]
	v_add_f64_e32 v[146:147], v[30:31], v[191:192]
	v_add_f64_e32 v[179:180], v[52:53], v[120:121]
	;; [unrolled: 1-line block ×3, first 2 shown]
	v_add_f64_e64 v[30:31], v[30:31], -v[191:192]
	v_add_f64_e32 v[4:5], v[0:1], v[4:5]
	v_add_f64_e32 v[62:63], v[62:63], v[144:145]
	;; [unrolled: 1-line block ×3, first 2 shown]
	v_fma_f64 v[42:43], v[70:71], -0.5, v[42:43]
	v_fma_f64 v[48:49], v[96:97], -0.5, v[48:49]
	v_add_f64_e64 v[96:97], v[6:7], -v[10:11]
	v_fma_f64 v[104:105], v[104:105], -0.5, v[56:57]
	v_add_f64_e32 v[70:71], v[132:133], v[18:19]
	v_fma_f64 v[0:1], v[60:61], -0.5, v[0:1]
	v_add_f64_e32 v[60:61], v[46:47], v[72:73]
	s_wait_dscnt 0x0
	v_add_f64_e32 v[144:145], v[98:99], v[46:47]
	v_add_f64_e32 v[56:57], v[56:57], v[84:85]
	v_fma_f64 v[66:67], v[66:67], -0.5, v[136:137]
	v_add_f64_e32 v[136:137], v[16:17], v[12:13]
	v_add_f64_e32 v[68:69], v[68:69], v[142:143]
	;; [unrolled: 1-line block ×4, first 2 shown]
	v_fma_f64 v[86:87], v[86:87], -0.5, v[187:188]
	v_add_f64_e32 v[44:45], v[92:93], v[44:45]
	v_fma_f64 v[92:93], v[94:95], -0.5, v[138:139]
	v_fma_f64 v[94:95], v[114:115], -0.5, v[128:129]
	;; [unrolled: 1-line block ×3, first 2 shown]
	v_add_f64_e32 v[90:91], v[90:91], v[118:119]
	v_add_f64_e32 v[215:216], v[134:135], v[36:37]
	v_add_f64_e64 v[84:85], v[84:85], -v[50:51]
	v_fma_f64 v[114:115], v[181:182], -0.5, v[134:135]
	v_fma_f64 v[134:135], v[195:196], -0.5, v[2:3]
	v_add_co_u32 v219, vcc_lo, v200, v223
	s_wait_alu 0xfffd
	v_add_co_ci_u32_e32 v220, vcc_lo, v201, v224, vcc_lo
	v_add_f64_e32 v[223:224], v[102:103], v[80:81]
	v_add_f64_e32 v[235:236], v[18:19], v[14:15]
	;; [unrolled: 1-line block ×3, first 2 shown]
	v_add_f64_e64 v[208:209], v[209:210], -v[64:65]
	v_add_f64_e64 v[102:103], v[102:103], -v[80:81]
	v_add_f64_e32 v[34:35], v[100:101], v[34:35]
	v_add_f64_e32 v[100:101], v[106:107], v[108:109]
	v_fma_f64 v[20:21], v[225:226], -0.5, v[20:21]
	v_add_f64_e32 v[150:151], v[229:230], v[152:153]
	v_add_f64_e64 v[36:37], v[36:37], -v[32:33]
	v_fma_f64 v[118:119], v[76:77], s[6:7], v[42:43]
	v_fma_f64 v[42:43], v[76:77], s[2:3], v[42:43]
	v_add_f64_e32 v[76:77], v[231:232], v[80:81]
	v_fma_f64 v[138:139], v[96:97], s[6:7], v[104:105]
	v_fma_f64 v[96:97], v[96:97], s[2:3], v[104:105]
	;; [unrolled: 1-line block ×4, first 2 shown]
	v_add_f64_e64 v[120:121], v[120:121], -v[193:194]
	v_add_f64_e64 v[18:19], v[18:19], -v[14:15]
	;; [unrolled: 1-line block ×4, first 2 shown]
	v_fma_f64 v[88:89], v[112:113], -0.5, v[88:89]
	v_fma_f64 v[106:107], v[122:123], -0.5, v[229:230]
	;; [unrolled: 1-line block ×3, first 2 shown]
	v_add_f64_e32 v[70:71], v[70:71], v[14:15]
	v_fma_f64 v[14:15], v[60:61], -0.5, v[98:99]
	v_add_f64_e32 v[60:61], v[144:145], v[72:73]
	v_add_f64_e32 v[50:51], v[56:57], v[50:51]
	v_fma_f64 v[56:57], v[136:137], -0.5, v[130:131]
	v_add_f64_e32 v[72:73], v[142:143], v[12:13]
	v_add_f64_e32 v[98:99], v[6:7], v[10:11]
	v_add_f64_e32 v[40:41], v[40:41], v[54:55]
	v_add_f64_e32 v[54:55], v[4:5], v[8:9]
	v_fma_f64 v[8:9], v[82:83], s[2:3], v[0:1]
	v_fma_f64 v[10:11], v[82:83], s[6:7], v[0:1]
	;; [unrolled: 1-line block ×15, first 2 shown]
	v_mul_f64_e32 v[52:53], -0.5, v[118:119]
	v_mul_f64_e32 v[78:79], 0.5, v[42:43]
	v_mul_f64_e32 v[42:43], s[6:7], v[42:43]
	v_mul_f64_e32 v[86:87], s[6:7], v[118:119]
	v_fma_f64 v[84:85], v[84:85], s[6:7], v[134:135]
	v_mul_f64_e32 v[118:119], 0.5, v[96:97]
	v_mul_f64_e32 v[96:97], s[6:7], v[96:97]
	v_mul_f64_e32 v[94:95], -0.5, v[138:139]
	v_mul_f64_e32 v[134:135], s[6:7], v[138:139]
	v_add_f64_e64 v[152:153], v[152:153], -v[156:157]
	v_add_f64_e32 v[122:123], v[215:216], v[32:33]
	v_fma_f64 v[32:33], v[223:224], -0.5, v[202:203]
	v_fma_f64 v[132:133], v[235:236], -0.5, v[132:133]
	v_add_f64_e64 v[2:3], v[90:91], -v[44:45]
	v_add_f64_e64 v[0:1], v[34:35], -v[100:101]
	v_add_f64_e32 v[6:7], v[90:91], v[44:45]
	v_fma_f64 v[44:45], v[208:209], s[2:3], v[20:21]
	v_add_f64_e32 v[4:5], v[34:35], v[100:101]
	v_fma_f64 v[20:21], v[208:209], s[6:7], v[20:21]
	v_mul_f64_e32 v[34:35], 0.5, v[48:49]
	v_mul_f64_e32 v[48:49], s[6:7], v[48:49]
	v_mul_f64_e32 v[90:91], -0.5, v[80:81]
	v_mul_f64_e32 v[80:81], s[6:7], v[80:81]
	v_add_f64_e32 v[108:109], v[150:151], v[156:157]
	v_add_f64_e32 v[112:113], v[179:180], v[193:194]
	;; [unrolled: 1-line block ×3, first 2 shown]
	v_fma_f64 v[100:101], v[116:117], s[2:3], v[88:89]
	v_fma_f64 v[88:89], v[116:117], s[6:7], v[88:89]
	;; [unrolled: 1-line block ×6, first 2 shown]
	v_mul_f64_e32 v[120:121], -0.5, v[12:13]
	v_mul_f64_e32 v[148:149], 0.5, v[82:83]
	v_mul_f64_e32 v[150:151], s[6:7], v[12:13]
	v_mul_f64_e32 v[156:157], -0.5, v[38:39]
	v_mul_f64_e32 v[179:180], 0.5, v[30:31]
	v_mul_f64_e32 v[181:182], s[6:7], v[30:31]
	v_fma_f64 v[52:53], v[8:9], s[2:3], v[52:53]
	v_fma_f64 v[78:79], v[10:11], s[2:3], v[78:79]
	v_fma_f64 v[187:188], v[10:11], 0.5, v[42:43]
	v_fma_f64 v[86:87], v[8:9], -0.5, v[86:87]
	v_mul_f64_e32 v[38:39], s[6:7], v[38:39]
	v_fma_f64 v[195:196], v[16:17], s[2:3], v[14:15]
	v_fma_f64 v[206:207], v[46:47], s[6:7], v[56:57]
	v_fma_f64 v[118:119], v[84:85], s[2:3], v[118:119]
	v_fma_f64 v[84:85], v[84:85], 0.5, v[96:97]
	v_fma_f64 v[193:194], v[16:17], s[6:7], v[14:15]
	v_fma_f64 v[202:203], v[46:47], s[2:3], v[56:57]
	;; [unrolled: 1-line block ×3, first 2 shown]
	v_fma_f64 v[92:93], v[92:93], -0.5, v[134:135]
	v_add_f64_e32 v[64:65], v[233:234], v[64:65]
	v_add_f64_e32 v[128:129], v[221:222], v[191:192]
	v_fma_f64 v[144:145], v[152:153], s[2:3], v[114:115]
	v_fma_f64 v[146:147], v[152:153], s[6:7], v[114:115]
	;; [unrolled: 1-line block ×6, first 2 shown]
	v_fma_f64 v[132:133], v[20:21], 0.5, v[48:49]
	v_fma_f64 v[114:115], v[18:19], s[6:7], v[32:33]
	v_fma_f64 v[90:91], v[44:45], s[2:3], v[90:91]
	v_fma_f64 v[134:135], v[44:45], -0.5, v[80:81]
	v_mul_f64_e32 v[82:83], s[6:7], v[82:83]
	v_add_f64_e64 v[8:9], v[70:71], -v[24:25]
	v_add_f64_e32 v[12:13], v[70:71], v[24:25]
	v_add_f64_e64 v[16:17], v[72:73], -v[98:99]
	v_add_f64_e32 v[20:21], v[72:73], v[98:99]
	v_add_f64_e32 v[36:37], v[62:63], v[40:41]
	;; [unrolled: 1-line block ×3, first 2 shown]
	v_fma_f64 v[24:25], v[100:101], s[2:3], v[120:121]
	v_fma_f64 v[98:99], v[88:89], s[2:3], v[148:149]
	v_fma_f64 v[120:121], v[100:101], -0.5, v[150:151]
	v_fma_f64 v[150:151], v[138:139], s[2:3], v[156:157]
	v_fma_f64 v[156:157], v[106:107], s[2:3], v[179:180]
	v_fma_f64 v[179:180], v[106:107], 0.5, v[181:182]
	v_add_f64_e64 v[18:19], v[60:61], -v[50:51]
	v_add_f64_e32 v[22:23], v[60:61], v[50:51]
	v_add_f64_e64 v[32:33], v[62:63], -v[40:41]
	v_add_f64_e64 v[40:41], v[104:105], -v[52:53]
	v_add_f64_e32 v[48:49], v[104:105], v[52:53]
	v_add_f64_e32 v[52:53], v[58:59], v[78:79]
	v_add_f64_e32 v[50:51], v[66:67], v[187:188]
	v_add_f64_e32 v[46:47], v[74:75], v[86:87]
	v_add_f64_e64 v[30:31], v[68:69], -v[54:55]
	v_fma_f64 v[138:139], v[138:139], -0.5, v[38:39]
	v_add_f64_e64 v[44:45], v[58:59], -v[78:79]
	v_add_f64_e64 v[42:43], v[66:67], -v[187:188]
	;; [unrolled: 1-line block ×3, first 2 shown]
	v_add_f64_e32 v[72:73], v[195:196], v[118:119]
	v_add_f64_e32 v[70:71], v[206:207], v[84:85]
	;; [unrolled: 1-line block ×4, first 2 shown]
	v_add_f64_e64 v[10:11], v[76:77], -v[64:65]
	v_add_f64_e32 v[14:15], v[76:77], v[64:65]
	v_add_f64_e64 v[76:77], v[195:196], -v[118:119]
	v_add_f64_e64 v[74:75], v[206:207], -v[84:85]
	;; [unrolled: 1-line block ×4, first 2 shown]
	v_add_f64_e32 v[80:81], v[152:153], v[102:103]
	v_add_f64_e32 v[78:79], v[96:97], v[132:133]
	;; [unrolled: 1-line block ×4, first 2 shown]
	v_fma_f64 v[148:149], v[88:89], 0.5, v[82:83]
	v_add_f64_e64 v[84:85], v[152:153], -v[102:103]
	v_add_f64_e64 v[82:83], v[96:97], -v[132:133]
	v_add_f64_e64 v[56:57], v[114:115], -v[90:91]
	v_add_f64_e64 v[54:55], v[191:192], -v[134:135]
	v_add_f64_e32 v[88:89], v[108:109], v[112:113]
	v_add_f64_e32 v[86:87], v[122:123], v[128:129]
	global_store_b128 v[154:155], v[34:37], off
	v_add_f64_e64 v[96:97], v[136:137], -v[98:99]
	v_add_f64_e64 v[34:35], v[140:141], -v[120:121]
	v_add_f64_e32 v[104:105], v[136:137], v[98:99]
	v_add_f64_e32 v[98:99], v[140:141], v[120:121]
	;; [unrolled: 1-line block ×4, first 2 shown]
	v_mad_co_u64_u32 v[26:27], null, s8, v178, 0
	v_add_co_u32 v183, vcc_lo, v200, v183
	s_wait_alu 0xfffd
	v_add_co_ci_u32_e32 v184, vcc_lo, v201, v184, vcc_lo
	v_add_co_u32 v185, vcc_lo, v200, v185
	s_wait_alu 0xfffd
	v_add_co_ci_u32_e32 v186, vcc_lo, v201, v186, vcc_lo
	s_clause 0x10
	global_store_b128 v[158:159], v[50:53], off
	global_store_b128 v[160:161], v[46:49], off
	;; [unrolled: 1-line block ×17, first 2 shown]
	v_lshlrev_b64_e32 v[9:10], 4, v[28:29]
	v_mov_b32_e32 v8, v27
	v_add_f64_e64 v[92:93], v[108:109], -v[112:113]
	v_add_f64_e64 v[108:109], v[116:117], -v[150:151]
	v_add_f64_e32 v[116:117], v[116:117], v[150:151]
	v_add_f64_e32 v[114:115], v[144:145], v[138:139]
	v_mad_co_u64_u32 v[198:199], null, s8, v177, 0
	v_mad_co_u64_u32 v[11:12], null, s9, v178, v[8:9]
	v_add_nc_u32_e32 v17, 0xac8, v175
	v_add_co_u32 v9, vcc_lo, v200, v9
	s_wait_alu 0xfffd
	v_add_co_ci_u32_e32 v10, vcc_lo, v201, v10, vcc_lo
	v_mov_b32_e32 v8, v199
	v_mad_co_u64_u32 v[12:13], null, s8, v17, 0
	v_mov_b32_e32 v27, v11
	v_mul_hi_u32 v11, 0x1b4e81b5, v174
	s_delay_alu instid0(VALU_DEP_4)
	v_mad_co_u64_u32 v[14:15], null, s9, v177, v[8:9]
	v_mad_co_u64_u32 v[15:16], null, s8, v176, 0
	v_add_f64_e64 v[90:91], v[122:123], -v[128:129]
	v_add_f64_e64 v[94:95], v[110:111], -v[148:149]
	v_add_f64_e32 v[102:103], v[110:111], v[148:149]
	v_add_f64_e64 v[112:113], v[142:143], -v[156:157]
	v_add_f64_e64 v[110:111], v[146:147], -v[179:180]
	s_clause 0x1
	global_store_b128 v[217:218], v[86:89], off
	global_store_b128 v[9:10], v[118:121], off
	v_lshlrev_b64_e32 v[9:10], 4, v[26:27]
	v_mov_b32_e32 v8, v13
	v_lshrrev_b32_e32 v11, 6, v11
	v_add_f64_e64 v[106:107], v[144:145], -v[138:139]
	v_add_f64_e64 v[36:37], v[130:131], -v[24:25]
	v_add_f64_e32 v[100:101], v[130:131], v[24:25]
	s_delay_alu instid0(VALU_DEP_4)
	v_mad_u32_u24 v23, 0xbb8, v11, v174
	v_mov_b32_e32 v199, v14
	v_mad_co_u64_u32 v[13:14], null, s9, v17, v[8:9]
	v_mov_b32_e32 v8, v16
	v_add_co_u32 v9, vcc_lo, v200, v9
	s_wait_alu 0xfffd
	v_add_co_ci_u32_e32 v10, vcc_lo, v201, v10, vcc_lo
	v_lshlrev_b64_e32 v[16:17], 4, v[198:199]
	s_delay_alu instid0(VALU_DEP_3)
	v_mad_co_u64_u32 v[18:19], null, s9, v176, v[8:9]
	v_mad_co_u64_u32 v[19:20], null, s8, v23, 0
	global_store_b128 v[9:10], v[114:117], off
	v_lshlrev_b64_e32 v[9:10], 4, v[12:13]
	v_add_co_u32 v21, vcc_lo, v200, v16
	s_wait_alu 0xfffd
	v_add_co_ci_u32_e32 v22, vcc_lo, v201, v17, vcc_lo
	v_mov_b32_e32 v8, v20
	v_mov_b32_e32 v16, v18
	v_add_nc_u32_e32 v18, 0x4b0, v23
	global_store_b128 v[21:22], v[90:93], off
	v_mad_co_u64_u32 v[13:14], null, s9, v23, v[8:9]
	v_add_co_u32 v8, vcc_lo, v200, v9
	s_wait_alu 0xfffd
	v_add_co_ci_u32_e32 v9, vcc_lo, v201, v10, vcc_lo
	v_lshlrev_b64_e32 v[11:12], 4, v[15:16]
	v_add_nc_u32_e32 v16, 0x258, v23
	v_mov_b32_e32 v20, v13
	global_store_b128 v[8:9], v[110:113], off
	v_add_co_u32 v10, vcc_lo, v200, v11
	v_lshlrev_b64_e32 v[8:9], 4, v[19:20]
	v_add_nc_u32_e32 v20, 0x708, v23
	s_wait_alu 0xfffd
	v_add_co_ci_u32_e32 v11, vcc_lo, v201, v12, vcc_lo
	v_mad_co_u64_u32 v[12:13], null, s8, v16, 0
	s_delay_alu instid0(VALU_DEP_3)
	v_mad_co_u64_u32 v[14:15], null, s8, v20, 0
	global_store_b128 v[10:11], v[106:109], off
	v_mad_co_u64_u32 v[10:11], null, s8, v18, 0
	v_add_nc_u32_e32 v24, 0x960, v23
	v_add_co_u32 v8, vcc_lo, v200, v8
	v_mad_co_u64_u32 v[16:17], null, s9, v16, v[13:14]
	v_add_nc_u32_e32 v23, 0xbb8, v23
	v_mad_co_u64_u32 v[17:18], null, s9, v18, v[11:12]
	v_mov_b32_e32 v11, v15
	v_mad_co_u64_u32 v[18:19], null, s8, v24, 0
	s_wait_alu 0xfffd
	v_add_co_ci_u32_e32 v9, vcc_lo, v201, v9, vcc_lo
	v_mov_b32_e32 v13, v16
	v_mad_co_u64_u32 v[20:21], null, s9, v20, v[11:12]
	v_mad_co_u64_u32 v[21:22], null, s8, v23, 0
	global_store_b128 v[8:9], v[4:7], off
	v_lshlrev_b64_e32 v[5:6], 4, v[12:13]
	v_dual_mov_b32 v4, v19 :: v_dual_mov_b32 v11, v17
	v_mov_b32_e32 v15, v20
	s_delay_alu instid0(VALU_DEP_2)
	v_mad_co_u64_u32 v[7:8], null, s9, v24, v[4:5]
	v_mov_b32_e32 v4, v22
	v_add_co_u32 v5, vcc_lo, v200, v5
	v_lshlrev_b64_e32 v[8:9], 4, v[10:11]
	s_wait_alu 0xfffd
	v_add_co_ci_u32_e32 v6, vcc_lo, v201, v6, vcc_lo
	s_delay_alu instid0(VALU_DEP_3)
	v_mad_co_u64_u32 v[10:11], null, s9, v23, v[4:5]
	v_lshlrev_b64_e32 v[11:12], 4, v[14:15]
	v_mov_b32_e32 v19, v7
	v_add_co_u32 v7, vcc_lo, v200, v8
	s_wait_alu 0xfffd
	v_add_co_ci_u32_e32 v8, vcc_lo, v201, v9, vcc_lo
	v_mov_b32_e32 v22, v10
	v_lshlrev_b64_e32 v[13:14], 4, v[18:19]
	v_add_co_u32 v9, vcc_lo, v200, v11
	s_wait_alu 0xfffd
	v_add_co_ci_u32_e32 v10, vcc_lo, v201, v12, vcc_lo
	v_lshlrev_b64_e32 v[11:12], 4, v[21:22]
	s_delay_alu instid0(VALU_DEP_4) | instskip(SKIP_2) | instid1(VALU_DEP_3)
	v_add_co_u32 v13, vcc_lo, v200, v13
	s_wait_alu 0xfffd
	v_add_co_ci_u32_e32 v14, vcc_lo, v201, v14, vcc_lo
	v_add_co_u32 v11, vcc_lo, v200, v11
	s_wait_alu 0xfffd
	v_add_co_ci_u32_e32 v12, vcc_lo, v201, v12, vcc_lo
	s_clause 0x4
	global_store_b128 v[5:6], v[102:105], off
	global_store_b128 v[7:8], v[98:101], off
	;; [unrolled: 1-line block ×5, first 2 shown]
.LBB0_15:
	s_nop 0
	s_sendmsg sendmsg(MSG_DEALLOC_VGPRS)
	s_endpgm
	.section	.rodata,"a",@progbits
	.p2align	6, 0x0
	.amdhsa_kernel fft_rtc_back_len3600_factors_10_10_6_6_wgs_120_tpt_120_halfLds_dp_ip_CI_sbrr_dirReg
		.amdhsa_group_segment_fixed_size 0
		.amdhsa_private_segment_fixed_size 0
		.amdhsa_kernarg_size 88
		.amdhsa_user_sgpr_count 2
		.amdhsa_user_sgpr_dispatch_ptr 0
		.amdhsa_user_sgpr_queue_ptr 0
		.amdhsa_user_sgpr_kernarg_segment_ptr 1
		.amdhsa_user_sgpr_dispatch_id 0
		.amdhsa_user_sgpr_private_segment_size 0
		.amdhsa_wavefront_size32 1
		.amdhsa_uses_dynamic_stack 0
		.amdhsa_enable_private_segment 0
		.amdhsa_system_sgpr_workgroup_id_x 1
		.amdhsa_system_sgpr_workgroup_id_y 0
		.amdhsa_system_sgpr_workgroup_id_z 0
		.amdhsa_system_sgpr_workgroup_info 0
		.amdhsa_system_vgpr_workitem_id 0
		.amdhsa_next_free_vgpr 246
		.amdhsa_next_free_sgpr 35
		.amdhsa_reserve_vcc 1
		.amdhsa_float_round_mode_32 0
		.amdhsa_float_round_mode_16_64 0
		.amdhsa_float_denorm_mode_32 3
		.amdhsa_float_denorm_mode_16_64 3
		.amdhsa_fp16_overflow 0
		.amdhsa_workgroup_processor_mode 1
		.amdhsa_memory_ordered 1
		.amdhsa_forward_progress 0
		.amdhsa_round_robin_scheduling 0
		.amdhsa_exception_fp_ieee_invalid_op 0
		.amdhsa_exception_fp_denorm_src 0
		.amdhsa_exception_fp_ieee_div_zero 0
		.amdhsa_exception_fp_ieee_overflow 0
		.amdhsa_exception_fp_ieee_underflow 0
		.amdhsa_exception_fp_ieee_inexact 0
		.amdhsa_exception_int_div_zero 0
	.end_amdhsa_kernel
	.text
.Lfunc_end0:
	.size	fft_rtc_back_len3600_factors_10_10_6_6_wgs_120_tpt_120_halfLds_dp_ip_CI_sbrr_dirReg, .Lfunc_end0-fft_rtc_back_len3600_factors_10_10_6_6_wgs_120_tpt_120_halfLds_dp_ip_CI_sbrr_dirReg
                                        ; -- End function
	.section	.AMDGPU.csdata,"",@progbits
; Kernel info:
; codeLenInByte = 20812
; NumSgprs: 37
; NumVgprs: 246
; ScratchSize: 0
; MemoryBound: 1
; FloatMode: 240
; IeeeMode: 1
; LDSByteSize: 0 bytes/workgroup (compile time only)
; SGPRBlocks: 4
; VGPRBlocks: 30
; NumSGPRsForWavesPerEU: 37
; NumVGPRsForWavesPerEU: 246
; Occupancy: 5
; WaveLimiterHint : 1
; COMPUTE_PGM_RSRC2:SCRATCH_EN: 0
; COMPUTE_PGM_RSRC2:USER_SGPR: 2
; COMPUTE_PGM_RSRC2:TRAP_HANDLER: 0
; COMPUTE_PGM_RSRC2:TGID_X_EN: 1
; COMPUTE_PGM_RSRC2:TGID_Y_EN: 0
; COMPUTE_PGM_RSRC2:TGID_Z_EN: 0
; COMPUTE_PGM_RSRC2:TIDIG_COMP_CNT: 0
	.text
	.p2alignl 7, 3214868480
	.fill 96, 4, 3214868480
	.type	__hip_cuid_dacfb87e57f5375d,@object ; @__hip_cuid_dacfb87e57f5375d
	.section	.bss,"aw",@nobits
	.globl	__hip_cuid_dacfb87e57f5375d
__hip_cuid_dacfb87e57f5375d:
	.byte	0                               ; 0x0
	.size	__hip_cuid_dacfb87e57f5375d, 1

	.ident	"AMD clang version 19.0.0git (https://github.com/RadeonOpenCompute/llvm-project roc-6.4.0 25133 c7fe45cf4b819c5991fe208aaa96edf142730f1d)"
	.section	".note.GNU-stack","",@progbits
	.addrsig
	.addrsig_sym __hip_cuid_dacfb87e57f5375d
	.amdgpu_metadata
---
amdhsa.kernels:
  - .args:
      - .actual_access:  read_only
        .address_space:  global
        .offset:         0
        .size:           8
        .value_kind:     global_buffer
      - .offset:         8
        .size:           8
        .value_kind:     by_value
      - .actual_access:  read_only
        .address_space:  global
        .offset:         16
        .size:           8
        .value_kind:     global_buffer
      - .actual_access:  read_only
        .address_space:  global
        .offset:         24
        .size:           8
        .value_kind:     global_buffer
      - .offset:         32
        .size:           8
        .value_kind:     by_value
      - .actual_access:  read_only
        .address_space:  global
        .offset:         40
        .size:           8
        .value_kind:     global_buffer
      - .actual_access:  read_only
        .address_space:  global
        .offset:         48
        .size:           8
        .value_kind:     global_buffer
      - .offset:         56
        .size:           4
        .value_kind:     by_value
      - .actual_access:  read_only
        .address_space:  global
        .offset:         64
        .size:           8
        .value_kind:     global_buffer
      - .actual_access:  read_only
        .address_space:  global
        .offset:         72
        .size:           8
        .value_kind:     global_buffer
      - .address_space:  global
        .offset:         80
        .size:           8
        .value_kind:     global_buffer
    .group_segment_fixed_size: 0
    .kernarg_segment_align: 8
    .kernarg_segment_size: 88
    .language:       OpenCL C
    .language_version:
      - 2
      - 0
    .max_flat_workgroup_size: 120
    .name:           fft_rtc_back_len3600_factors_10_10_6_6_wgs_120_tpt_120_halfLds_dp_ip_CI_sbrr_dirReg
    .private_segment_fixed_size: 0
    .sgpr_count:     37
    .sgpr_spill_count: 0
    .symbol:         fft_rtc_back_len3600_factors_10_10_6_6_wgs_120_tpt_120_halfLds_dp_ip_CI_sbrr_dirReg.kd
    .uniform_work_group_size: 1
    .uses_dynamic_stack: false
    .vgpr_count:     246
    .vgpr_spill_count: 0
    .wavefront_size: 32
    .workgroup_processor_mode: 1
amdhsa.target:   amdgcn-amd-amdhsa--gfx1201
amdhsa.version:
  - 1
  - 2
...

	.end_amdgpu_metadata
